;; amdgpu-corpus repo=ROCm/rocSPARSE kind=compiled arch=gfx1201 opt=O3
	.amdgcn_target "amdgcn-amd-amdhsa--gfx1201"
	.amdhsa_code_object_version 6
	.section	.text._ZN9rocsparseL17csrilu0_binsearchILj256ELj64ELb1EfEEviPKiS2_PT2_S2_PiS2_S5_S5_d21rocsparse_index_base_imNS_24const_host_device_scalarIfEENS7_IdEENS7_IS3_EEb,"axG",@progbits,_ZN9rocsparseL17csrilu0_binsearchILj256ELj64ELb1EfEEviPKiS2_PT2_S2_PiS2_S5_S5_d21rocsparse_index_base_imNS_24const_host_device_scalarIfEENS7_IdEENS7_IS3_EEb,comdat
	.globl	_ZN9rocsparseL17csrilu0_binsearchILj256ELj64ELb1EfEEviPKiS2_PT2_S2_PiS2_S5_S5_d21rocsparse_index_base_imNS_24const_host_device_scalarIfEENS7_IdEENS7_IS3_EEb ; -- Begin function _ZN9rocsparseL17csrilu0_binsearchILj256ELj64ELb1EfEEviPKiS2_PT2_S2_PiS2_S5_S5_d21rocsparse_index_base_imNS_24const_host_device_scalarIfEENS7_IdEENS7_IS3_EEb
	.p2align	8
	.type	_ZN9rocsparseL17csrilu0_binsearchILj256ELj64ELb1EfEEviPKiS2_PT2_S2_PiS2_S5_S5_d21rocsparse_index_base_imNS_24const_host_device_scalarIfEENS7_IdEENS7_IS3_EEb,@function
_ZN9rocsparseL17csrilu0_binsearchILj256ELj64ELb1EfEEviPKiS2_PT2_S2_PiS2_S5_S5_d21rocsparse_index_base_imNS_24const_host_device_scalarIfEENS7_IdEENS7_IS3_EEb: ; @_ZN9rocsparseL17csrilu0_binsearchILj256ELj64ELb1EfEEviPKiS2_PT2_S2_PiS2_S5_S5_d21rocsparse_index_base_imNS_24const_host_device_scalarIfEENS7_IdEENS7_IS3_EEb
; %bb.0:
	s_clause 0x2
	s_load_b32 s2, s[0:1], 0x78
	s_load_b64 s[28:29], s[0:1], 0x50
	s_load_b256 s[20:27], s[0:1], 0x58
	s_wait_kmcnt 0x0
	s_bitcmp1_b32 s2, 0
	s_cselect_b32 s2, -1, 0
	s_cmp_eq_u32 s29, 0
	s_cselect_b32 s4, -1, 0
	s_cmp_lg_u32 s29, 0
	s_cselect_b32 s29, -1, 0
	s_or_b32 s6, s4, s2
	s_delay_alu instid0(SALU_CYCLE_1)
	s_xor_b32 s5, s6, -1
	s_and_b32 s2, s4, exec_lo
	s_cselect_b32 s3, 0, s25
	s_cselect_b32 s2, 0, s24
	;; [unrolled: 1-line block ×3, first 2 shown]
	s_and_b32 vcc_lo, exec_lo, s6
	s_cbranch_vccnz .LBB0_2
; %bb.1:
	s_load_b32 s30, s[22:23], 0x0
	s_mov_b64 s[2:3], s[24:25]
.LBB0_2:
	v_cndmask_b32_e64 v1, 0, 1, s5
	v_dual_mov_b32 v4, s3 :: v_dual_mov_b32 v3, s2
	s_and_not1_b32 vcc_lo, exec_lo, s5
	s_cbranch_vccnz .LBB0_4
; %bb.3:
	v_dual_mov_b32 v2, s24 :: v_dual_mov_b32 v3, s25
	flat_load_b64 v[3:4], v[2:3]
.LBB0_4:
	s_delay_alu instid0(VALU_DEP_2)
	v_cmp_ne_u32_e32 vcc_lo, 1, v1
	s_and_b32 s2, s4, exec_lo
	s_cselect_b32 s3, 0, s26
	s_cbranch_vccnz .LBB0_6
; %bb.5:
	s_load_b32 s3, s[26:27], 0x0
.LBB0_6:
	s_load_b32 s2, s[0:1], 0x0
	v_lshrrev_b32_e32 v1, 6, v0
	s_lshl_b32 s4, ttmp9, 2
	s_wait_alu 0xfffe
	s_delay_alu instid0(VALU_DEP_1) | instskip(SKIP_1) | instid1(VALU_DEP_1)
	v_and_or_b32 v1, 0x3fffffc, s4, v1
	s_wait_kmcnt 0x0
	v_cmp_gt_i32_e32 vcc_lo, s2, v1
	s_and_saveexec_b32 s2, vcc_lo
	s_cbranch_execz .LBB0_44
; %bb.7:
	s_load_b512 s[4:19], s[0:1], 0x8
	v_lshlrev_b32_e32 v1, 2, v1
	v_and_b32_e32 v0, 63, v0
	s_mov_b32 s2, exec_lo
	s_wait_kmcnt 0x0
	global_load_b32 v5, v1, s[14:15]
	s_wait_loadcnt 0x0
	v_ashrrev_i32_e32 v6, 31, v5
	s_delay_alu instid0(VALU_DEP_1) | instskip(NEXT) | instid1(VALU_DEP_1)
	v_lshlrev_b64_e32 v[1:2], 2, v[5:6]
	v_add_co_u32 v8, vcc_lo, s4, v1
	s_delay_alu instid0(VALU_DEP_1)
	v_add_co_ci_u32_e64 v9, null, s5, v2, vcc_lo
	v_add_co_u32 v6, vcc_lo, s10, v1
	s_wait_alu 0xfffd
	v_add_co_ci_u32_e64 v7, null, s11, v2, vcc_lo
	global_load_b32 v10, v[8:9], off
	global_load_b32 v6, v[6:7], off
	s_wait_loadcnt 0x1
	v_subrev_nc_u32_e32 v7, s28, v10
	s_wait_loadcnt 0x0
	s_delay_alu instid0(VALU_DEP_1)
	v_cmpx_lt_i32_e64 v7, v6
	s_cbranch_execz .LBB0_26
; %bb.8:
	global_load_b32 v8, v[8:9], off offset:4
	v_add_nc_u32_e32 v16, 1, v0
	s_mov_b32 s14, 0
	s_wait_loadcnt 0x0
	v_xad_u32 v17, s28, -1, v8
	s_branch .LBB0_11
.LBB0_9:                                ;   in Loop: Header=BB0_11 Depth=1
	s_or_b32 exec_lo, exec_lo, s22
	v_cmp_ge_i32_e32 vcc_lo, v7, v6
	s_or_not1_b32 s22, vcc_lo, exec_lo
.LBB0_10:                               ;   in Loop: Header=BB0_11 Depth=1
	s_or_b32 exec_lo, exec_lo, s15
	s_delay_alu instid0(SALU_CYCLE_1) | instskip(NEXT) | instid1(SALU_CYCLE_1)
	s_and_b32 s15, exec_lo, s22
	s_or_b32 s14, s15, s14
	s_delay_alu instid0(SALU_CYCLE_1)
	s_and_not1_b32 exec_lo, exec_lo, s14
	s_cbranch_execz .LBB0_26
.LBB0_11:                               ; =>This Loop Header: Depth=1
                                        ;     Child Loop BB0_14 Depth 2
                                        ;       Child Loop BB0_15 Depth 3
                                        ;     Child Loop BB0_20 Depth 2
                                        ;       Child Loop BB0_22 Depth 3
	v_ashrrev_i32_e32 v8, 31, v7
	s_mov_b32 s15, exec_lo
	s_delay_alu instid0(VALU_DEP_1) | instskip(NEXT) | instid1(VALU_DEP_1)
	v_lshlrev_b64_e32 v[9:10], 2, v[7:8]
	v_add_co_u32 v11, vcc_lo, s6, v9
	s_wait_alu 0xfffd
	s_delay_alu instid0(VALU_DEP_2)
	v_add_co_ci_u32_e64 v12, null, s7, v10, vcc_lo
	v_add_co_u32 v9, vcc_lo, s8, v9
	s_wait_alu 0xfffd
	v_add_co_ci_u32_e64 v10, null, s9, v10, vcc_lo
	global_load_b32 v8, v[11:12], off
	s_wait_loadcnt 0x0
	v_subrev_nc_u32_e32 v11, s28, v8
	s_delay_alu instid0(VALU_DEP_1) | instskip(NEXT) | instid1(VALU_DEP_1)
	v_ashrrev_i32_e32 v12, 31, v11
	v_lshlrev_b64_e32 v[11:12], 2, v[11:12]
	s_delay_alu instid0(VALU_DEP_1) | instskip(SKIP_1) | instid1(VALU_DEP_2)
	v_add_co_u32 v14, vcc_lo, s4, v11
	s_wait_alu 0xfffd
	v_add_co_ci_u32_e64 v15, null, s5, v12, vcc_lo
	v_add_co_u32 v18, vcc_lo, s10, v11
	s_wait_alu 0xfffd
	v_add_co_ci_u32_e64 v19, null, s11, v12, vcc_lo
	;; [unrolled: 3-line block ×3, first 2 shown]
	global_load_b32 v13, v[9:10], off
	global_load_b32 v14, v[14:15], off offset:4
	global_load_b32 v8, v[18:19], off
	global_load_b32 v15, v[11:12], off scope:SCOPE_DEV
	s_wait_loadcnt 0x0
	v_cmpx_eq_u32_e32 0, v15
	s_cbranch_execz .LBB0_16
; %bb.12:                               ;   in Loop: Header=BB0_11 Depth=1
	s_mov_b32 s22, 0
	s_mov_b32 s23, 0
	s_branch .LBB0_14
.LBB0_13:                               ;   in Loop: Header=BB0_14 Depth=2
	global_load_b32 v15, v[11:12], off scope:SCOPE_DEV
	s_cmp_lt_u32 s23, 0xf43
	s_cselect_b32 s24, -1, 0
	s_wait_alu 0xfffe
	s_cmp_lg_u32 s24, 0
	s_add_co_ci_u32 s23, s23, 0
	s_wait_loadcnt 0x0
	v_cmp_ne_u32_e32 vcc_lo, 0, v15
	s_or_b32 s22, vcc_lo, s22
	s_delay_alu instid0(SALU_CYCLE_1)
	s_and_not1_b32 exec_lo, exec_lo, s22
	s_cbranch_execz .LBB0_16
.LBB0_14:                               ;   Parent Loop BB0_11 Depth=1
                                        ; =>  This Loop Header: Depth=2
                                        ;       Child Loop BB0_15 Depth 3
	s_cmp_eq_u32 s23, 0
	s_mov_b32 s24, s23
	s_cbranch_scc1 .LBB0_13
.LBB0_15:                               ;   Parent Loop BB0_11 Depth=1
                                        ;     Parent Loop BB0_14 Depth=2
                                        ; =>    This Inner Loop Header: Depth=3
	s_wait_alu 0xfffe
	s_add_co_i32 s24, s24, -1
	s_sleep 1
	s_wait_alu 0xfffe
	s_cmp_eq_u32 s24, 0
	s_cbranch_scc0 .LBB0_15
	s_branch .LBB0_13
.LBB0_16:                               ;   in Loop: Header=BB0_11 Depth=1
	s_or_b32 exec_lo, exec_lo, s15
	v_subrev_nc_u32_e32 v18, s28, v14
	v_cmp_eq_u32_e32 vcc_lo, -1, v8
	s_wait_dscnt 0x0
	global_inv scope:SCOPE_DEV
	s_mov_b32 s22, -1
	s_mov_b32 s15, exec_lo
	v_add_nc_u32_e32 v11, -1, v18
	s_wait_alu 0xfffd
	s_delay_alu instid0(VALU_DEP_1) | instskip(NEXT) | instid1(VALU_DEP_1)
	v_cndmask_b32_e32 v11, v8, v11, vcc_lo
	v_ashrrev_i32_e32 v12, 31, v11
	s_delay_alu instid0(VALU_DEP_1) | instskip(NEXT) | instid1(VALU_DEP_1)
	v_lshlrev_b64_e32 v[14:15], 2, v[11:12]
	v_add_co_u32 v14, vcc_lo, s8, v14
	s_wait_alu 0xfffd
	s_delay_alu instid0(VALU_DEP_2)
	v_add_co_ci_u32_e64 v15, null, s9, v15, vcc_lo
	global_load_b32 v12, v[14:15], off
	s_wait_loadcnt 0x0
	v_cmpx_neq_f32_e32 0, v12
	s_xor_b32 s15, exec_lo, s15
	s_cbranch_execz .LBB0_10
; %bb.17:                               ;   in Loop: Header=BB0_11 Depth=1
	v_div_scale_f32 v8, null, v12, v12, v13
	v_div_scale_f32 v19, vcc_lo, v13, v12, v13
	s_mov_b32 s22, exec_lo
	v_rcp_f32_e32 v14, v8
	v_add_nc_u32_e32 v7, 1, v7
	s_delay_alu instid0(TRANS32_DEP_1) | instskip(NEXT) | instid1(VALU_DEP_1)
	v_fma_f32 v15, -v8, v14, 1.0
	v_fmac_f32_e32 v14, v15, v14
	s_delay_alu instid0(VALU_DEP_1) | instskip(NEXT) | instid1(VALU_DEP_1)
	v_mul_f32_e32 v15, v19, v14
	v_fma_f32 v20, -v8, v15, v19
	s_delay_alu instid0(VALU_DEP_1) | instskip(NEXT) | instid1(VALU_DEP_1)
	v_fmac_f32_e32 v15, v20, v14
	v_fma_f32 v8, -v8, v15, v19
	s_wait_alu 0xfffd
	s_delay_alu instid0(VALU_DEP_1) | instskip(SKIP_1) | instid1(VALU_DEP_2)
	v_div_fmas_f32 v14, v8, v14, v15
	v_add_nc_u32_e32 v8, v16, v11
	v_div_fixup_f32 v19, v14, v12, v13
	global_store_b32 v[9:10], v19, off
	v_cmpx_lt_i32_e64 v8, v18
	s_cbranch_execz .LBB0_9
; %bb.18:                               ;   in Loop: Header=BB0_11 Depth=1
	v_mov_b32_e32 v10, v7
	s_mov_b32 s23, 0
	s_branch .LBB0_20
.LBB0_19:                               ;   in Loop: Header=BB0_20 Depth=2
	s_wait_alu 0xfffe
	s_or_b32 exec_lo, exec_lo, s24
	v_add_nc_u32_e32 v8, 64, v8
	s_delay_alu instid0(VALU_DEP_1) | instskip(SKIP_1) | instid1(SALU_CYCLE_1)
	v_cmp_ge_i32_e32 vcc_lo, v8, v18
	s_or_b32 s23, vcc_lo, s23
	s_and_not1_b32 exec_lo, exec_lo, s23
	s_cbranch_execz .LBB0_9
.LBB0_20:                               ;   Parent Loop BB0_11 Depth=1
                                        ; =>  This Loop Header: Depth=2
                                        ;       Child Loop BB0_22 Depth 3
	s_delay_alu instid0(VALU_DEP_1) | instskip(SKIP_1) | instid1(VALU_DEP_1)
	v_add_nc_u32_e32 v9, v10, v17
	s_mov_b32 s24, exec_lo
	v_ashrrev_i32_e32 v14, 1, v9
	v_ashrrev_i32_e32 v9, 31, v8
	s_delay_alu instid0(VALU_DEP_2) | instskip(NEXT) | instid1(VALU_DEP_2)
	v_ashrrev_i32_e32 v15, 31, v14
	v_lshlrev_b64_e32 v[12:13], 2, v[8:9]
	s_delay_alu instid0(VALU_DEP_2) | instskip(NEXT) | instid1(VALU_DEP_2)
	v_lshlrev_b64_e32 v[20:21], 2, v[14:15]
	v_add_co_u32 v22, vcc_lo, s6, v12
	s_wait_alu 0xfffd
	s_delay_alu instid0(VALU_DEP_3) | instskip(NEXT) | instid1(VALU_DEP_3)
	v_add_co_ci_u32_e64 v23, null, s7, v13, vcc_lo
	v_add_co_u32 v20, vcc_lo, s6, v20
	s_wait_alu 0xfffd
	v_add_co_ci_u32_e64 v21, null, s7, v21, vcc_lo
	s_clause 0x1
	global_load_b32 v9, v[22:23], off
	global_load_b32 v11, v[20:21], off
	v_cmpx_lt_i32_e64 v10, v17
	s_cbranch_execz .LBB0_24
; %bb.21:                               ;   in Loop: Header=BB0_20 Depth=2
	v_mov_b32_e32 v20, v17
	s_mov_b32 s25, 0
.LBB0_22:                               ;   Parent Loop BB0_11 Depth=1
                                        ;     Parent Loop BB0_20 Depth=2
                                        ; =>    This Inner Loop Header: Depth=3
	s_wait_loadcnt 0x0
	v_cmp_lt_i32_e32 vcc_lo, v11, v9
	s_wait_alu 0xfffd
	v_dual_cndmask_b32 v20, v14, v20 :: v_dual_add_nc_u32 v15, 1, v14
	s_delay_alu instid0(VALU_DEP_1) | instskip(NEXT) | instid1(VALU_DEP_1)
	v_cndmask_b32_e32 v10, v10, v15, vcc_lo
	v_add_nc_u32_e32 v11, v20, v10
	s_delay_alu instid0(VALU_DEP_1) | instskip(NEXT) | instid1(VALU_DEP_1)
	v_ashrrev_i32_e32 v14, 1, v11
	v_ashrrev_i32_e32 v15, 31, v14
	s_delay_alu instid0(VALU_DEP_1) | instskip(NEXT) | instid1(VALU_DEP_1)
	v_lshlrev_b64_e32 v[21:22], 2, v[14:15]
	v_add_co_u32 v21, vcc_lo, s6, v21
	s_wait_alu 0xfffd
	s_delay_alu instid0(VALU_DEP_2)
	v_add_co_ci_u32_e64 v22, null, s7, v22, vcc_lo
	v_cmp_ge_i32_e32 vcc_lo, v10, v20
	global_load_b32 v11, v[21:22], off
	s_wait_alu 0xfffe
	s_or_b32 s25, vcc_lo, s25
	s_wait_alu 0xfffe
	s_and_not1_b32 exec_lo, exec_lo, s25
	s_cbranch_execnz .LBB0_22
; %bb.23:                               ;   in Loop: Header=BB0_20 Depth=2
	s_or_b32 exec_lo, exec_lo, s25
.LBB0_24:                               ;   in Loop: Header=BB0_20 Depth=2
	s_wait_alu 0xfffe
	s_or_b32 exec_lo, exec_lo, s24
	s_delay_alu instid0(SALU_CYCLE_1)
	s_mov_b32 s24, exec_lo
	s_wait_loadcnt 0x0
	v_cmpx_eq_u32_e64 v11, v9
	s_cbranch_execz .LBB0_19
; %bb.25:                               ;   in Loop: Header=BB0_20 Depth=2
	v_ashrrev_i32_e32 v11, 31, v10
	s_delay_alu instid0(VALU_DEP_1) | instskip(SKIP_3) | instid1(VALU_DEP_3)
	v_lshlrev_b64_e32 v[14:15], 2, v[10:11]
	v_add_co_u32 v11, vcc_lo, s8, v12
	s_wait_alu 0xfffd
	v_add_co_ci_u32_e64 v12, null, s9, v13, vcc_lo
	v_add_co_u32 v13, vcc_lo, s8, v14
	s_wait_alu 0xfffd
	v_add_co_ci_u32_e64 v14, null, s9, v15, vcc_lo
	s_clause 0x1
	global_load_b32 v9, v[11:12], off
	global_load_b32 v11, v[13:14], off
	s_wait_loadcnt 0x0
	v_fma_f32 v9, -v19, v9, v11
	global_store_b32 v[13:14], v9, off
	s_branch .LBB0_19
.LBB0_26:
	s_wait_alu 0xfffe
	s_or_b32 exec_lo, exec_lo, s2
	s_mov_b32 s5, -1
	s_mov_b32 s4, exec_lo
	s_wait_storecnt_dscnt 0x0
	global_inv scope:SCOPE_SE
	v_cmpx_lt_i32_e32 -1, v6
	s_cbranch_execz .LBB0_42
; %bb.27:
	v_mov_b32_e32 v7, 0
	v_cmp_eq_u32_e64 s2, 0, v0
	s_delay_alu instid0(VALU_DEP_2) | instskip(NEXT) | instid1(VALU_DEP_1)
	v_lshlrev_b64_e32 v[6:7], 2, v[6:7]
	v_add_co_u32 v8, vcc_lo, s8, v6
	s_wait_alu 0xfffd
	s_delay_alu instid0(VALU_DEP_2)
	v_add_co_ci_u32_e64 v9, null, s9, v7, vcc_lo
	global_load_b32 v10, v[8:9], off
	s_wait_loadcnt 0x0
	v_cmp_gt_f32_e32 vcc_lo, 0, v10
	s_wait_alu 0xfffd
	v_cndmask_b32_e64 v6, v10, -v10, vcc_lo
	s_and_not1_b32 vcc_lo, exec_lo, s29
	s_delay_alu instid0(VALU_DEP_1)
	v_cvt_f64_f32_e32 v[6:7], v6
	s_wait_alu 0xfffe
	s_cbranch_vccnz .LBB0_31
; %bb.28:
	v_cvt_f64_f32_e32 v[11:12], s30
	s_cmp_eq_u64 s[20:21], 8
	s_cselect_b32 vcc_lo, -1, 0
	s_wait_alu 0xfffe
	s_delay_alu instid0(VALU_DEP_1) | instskip(NEXT) | instid1(VALU_DEP_1)
	v_dual_cndmask_b32 v4, v12, v4 :: v_dual_cndmask_b32 v3, v11, v3
	v_cmp_ge_f64_e32 vcc_lo, v[3:4], v[6:7]
	s_and_b32 s6, s2, vcc_lo
	s_wait_alu 0xfffe
	s_and_saveexec_b32 s5, s6
	s_cbranch_execz .LBB0_30
; %bb.29:
	v_mov_b32_e32 v3, s3
	global_store_b32 v[8:9], v3, off
.LBB0_30:
	s_wait_alu 0xfffe
	s_or_b32 exec_lo, exec_lo, s5
	s_mov_b32 s5, 0
.LBB0_31:
	s_wait_alu 0xfffe
	s_and_not1_b32 vcc_lo, exec_lo, s5
	s_wait_alu 0xfffe
	s_cbranch_vccnz .LBB0_42
; %bb.32:
	s_load_b64 s[0:1], s[0:1], 0x48
	v_add_nc_u32_e32 v3, s28, v5
	s_wait_kmcnt 0x0
	s_delay_alu instid0(VALU_DEP_2)
	v_cmp_ge_f64_e32 vcc_lo, s[0:1], v[6:7]
	s_and_b32 s1, s2, vcc_lo
	s_wait_alu 0xfffe
	s_and_saveexec_b32 s0, s1
	s_cbranch_execz .LBB0_37
; %bb.33:
	s_mov_b32 s3, exec_lo
	s_brev_b32 s1, -2
.LBB0_34:                               ; =>This Inner Loop Header: Depth=1
	s_wait_alu 0xfffe
	s_ctz_i32_b32 s5, s3
	s_wait_alu 0xfffe
	v_readlane_b32 s6, v3, s5
	s_lshl_b32 s5, 1, s5
	s_wait_alu 0xfffe
	s_and_not1_b32 s3, s3, s5
	s_min_i32 s1, s1, s6
	s_wait_alu 0xfffe
	s_cmp_lg_u32 s3, 0
	s_cbranch_scc1 .LBB0_34
; %bb.35:
	v_mbcnt_lo_u32_b32 v4, exec_lo, 0
	s_mov_b32 s3, exec_lo
	s_delay_alu instid0(VALU_DEP_1)
	v_cmpx_eq_u32_e32 0, v4
	s_wait_alu 0xfffe
	s_xor_b32 s3, exec_lo, s3
	s_cbranch_execz .LBB0_37
; %bb.36:
	v_dual_mov_b32 v4, 0 :: v_dual_mov_b32 v5, s1
	global_atomic_min_i32 v4, v5, s[18:19] scope:SCOPE_DEV
.LBB0_37:
	s_wait_alu 0xfffe
	s_or_b32 exec_lo, exec_lo, s0
	v_cmp_eq_f32_e32 vcc_lo, 0, v10
	s_and_b32 s0, s2, vcc_lo
	s_wait_alu 0xfffe
	s_and_b32 exec_lo, exec_lo, s0
	s_cbranch_execz .LBB0_42
; %bb.38:
	s_mov_b32 s1, exec_lo
	s_brev_b32 s0, -2
.LBB0_39:                               ; =>This Inner Loop Header: Depth=1
	s_wait_alu 0xfffe
	s_ctz_i32_b32 s2, s1
	s_wait_alu 0xfffe
	v_readlane_b32 s3, v3, s2
	s_lshl_b32 s2, 1, s2
	s_wait_alu 0xfffe
	s_and_not1_b32 s1, s1, s2
	s_min_i32 s0, s0, s3
	s_wait_alu 0xfffe
	s_cmp_lg_u32 s1, 0
	s_cbranch_scc1 .LBB0_39
; %bb.40:
	v_mbcnt_lo_u32_b32 v3, exec_lo, 0
	s_mov_b32 s1, exec_lo
	s_delay_alu instid0(VALU_DEP_1)
	v_cmpx_eq_u32_e32 0, v3
	s_wait_alu 0xfffe
	s_xor_b32 s1, exec_lo, s1
	s_cbranch_execz .LBB0_42
; %bb.41:
	v_dual_mov_b32 v3, 0 :: v_dual_mov_b32 v4, s0
	global_atomic_min_i32 v3, v4, s[16:17] scope:SCOPE_DEV
.LBB0_42:
	s_wait_alu 0xfffe
	s_or_b32 exec_lo, exec_lo, s4
	v_cmp_eq_u32_e32 vcc_lo, 0, v0
	s_wait_loadcnt 0x0
	s_wait_storecnt 0x0
	global_inv scope:SCOPE_DEV
	s_and_b32 exec_lo, exec_lo, vcc_lo
	s_cbranch_execz .LBB0_44
; %bb.43:
	v_add_co_u32 v0, vcc_lo, s12, v1
	s_wait_alu 0xfffd
	v_add_co_ci_u32_e64 v1, null, s13, v2, vcc_lo
	v_mov_b32_e32 v2, 1
	s_wait_loadcnt 0x0
	global_store_b32 v[0:1], v2, off scope:SCOPE_DEV
.LBB0_44:
	s_endpgm
	.section	.rodata,"a",@progbits
	.p2align	6, 0x0
	.amdhsa_kernel _ZN9rocsparseL17csrilu0_binsearchILj256ELj64ELb1EfEEviPKiS2_PT2_S2_PiS2_S5_S5_d21rocsparse_index_base_imNS_24const_host_device_scalarIfEENS7_IdEENS7_IS3_EEb
		.amdhsa_group_segment_fixed_size 0
		.amdhsa_private_segment_fixed_size 0
		.amdhsa_kernarg_size 124
		.amdhsa_user_sgpr_count 2
		.amdhsa_user_sgpr_dispatch_ptr 0
		.amdhsa_user_sgpr_queue_ptr 0
		.amdhsa_user_sgpr_kernarg_segment_ptr 1
		.amdhsa_user_sgpr_dispatch_id 0
		.amdhsa_user_sgpr_private_segment_size 0
		.amdhsa_wavefront_size32 1
		.amdhsa_uses_dynamic_stack 0
		.amdhsa_enable_private_segment 0
		.amdhsa_system_sgpr_workgroup_id_x 1
		.amdhsa_system_sgpr_workgroup_id_y 0
		.amdhsa_system_sgpr_workgroup_id_z 0
		.amdhsa_system_sgpr_workgroup_info 0
		.amdhsa_system_vgpr_workitem_id 0
		.amdhsa_next_free_vgpr 24
		.amdhsa_next_free_sgpr 31
		.amdhsa_reserve_vcc 1
		.amdhsa_float_round_mode_32 0
		.amdhsa_float_round_mode_16_64 0
		.amdhsa_float_denorm_mode_32 3
		.amdhsa_float_denorm_mode_16_64 3
		.amdhsa_fp16_overflow 0
		.amdhsa_workgroup_processor_mode 1
		.amdhsa_memory_ordered 1
		.amdhsa_forward_progress 1
		.amdhsa_inst_pref_size 16
		.amdhsa_round_robin_scheduling 0
		.amdhsa_exception_fp_ieee_invalid_op 0
		.amdhsa_exception_fp_denorm_src 0
		.amdhsa_exception_fp_ieee_div_zero 0
		.amdhsa_exception_fp_ieee_overflow 0
		.amdhsa_exception_fp_ieee_underflow 0
		.amdhsa_exception_fp_ieee_inexact 0
		.amdhsa_exception_int_div_zero 0
	.end_amdhsa_kernel
	.section	.text._ZN9rocsparseL17csrilu0_binsearchILj256ELj64ELb1EfEEviPKiS2_PT2_S2_PiS2_S5_S5_d21rocsparse_index_base_imNS_24const_host_device_scalarIfEENS7_IdEENS7_IS3_EEb,"axG",@progbits,_ZN9rocsparseL17csrilu0_binsearchILj256ELj64ELb1EfEEviPKiS2_PT2_S2_PiS2_S5_S5_d21rocsparse_index_base_imNS_24const_host_device_scalarIfEENS7_IdEENS7_IS3_EEb,comdat
.Lfunc_end0:
	.size	_ZN9rocsparseL17csrilu0_binsearchILj256ELj64ELb1EfEEviPKiS2_PT2_S2_PiS2_S5_S5_d21rocsparse_index_base_imNS_24const_host_device_scalarIfEENS7_IdEENS7_IS3_EEb, .Lfunc_end0-_ZN9rocsparseL17csrilu0_binsearchILj256ELj64ELb1EfEEviPKiS2_PT2_S2_PiS2_S5_S5_d21rocsparse_index_base_imNS_24const_host_device_scalarIfEENS7_IdEENS7_IS3_EEb
                                        ; -- End function
	.set _ZN9rocsparseL17csrilu0_binsearchILj256ELj64ELb1EfEEviPKiS2_PT2_S2_PiS2_S5_S5_d21rocsparse_index_base_imNS_24const_host_device_scalarIfEENS7_IdEENS7_IS3_EEb.num_vgpr, 24
	.set _ZN9rocsparseL17csrilu0_binsearchILj256ELj64ELb1EfEEviPKiS2_PT2_S2_PiS2_S5_S5_d21rocsparse_index_base_imNS_24const_host_device_scalarIfEENS7_IdEENS7_IS3_EEb.num_agpr, 0
	.set _ZN9rocsparseL17csrilu0_binsearchILj256ELj64ELb1EfEEviPKiS2_PT2_S2_PiS2_S5_S5_d21rocsparse_index_base_imNS_24const_host_device_scalarIfEENS7_IdEENS7_IS3_EEb.numbered_sgpr, 31
	.set _ZN9rocsparseL17csrilu0_binsearchILj256ELj64ELb1EfEEviPKiS2_PT2_S2_PiS2_S5_S5_d21rocsparse_index_base_imNS_24const_host_device_scalarIfEENS7_IdEENS7_IS3_EEb.num_named_barrier, 0
	.set _ZN9rocsparseL17csrilu0_binsearchILj256ELj64ELb1EfEEviPKiS2_PT2_S2_PiS2_S5_S5_d21rocsparse_index_base_imNS_24const_host_device_scalarIfEENS7_IdEENS7_IS3_EEb.private_seg_size, 0
	.set _ZN9rocsparseL17csrilu0_binsearchILj256ELj64ELb1EfEEviPKiS2_PT2_S2_PiS2_S5_S5_d21rocsparse_index_base_imNS_24const_host_device_scalarIfEENS7_IdEENS7_IS3_EEb.uses_vcc, 1
	.set _ZN9rocsparseL17csrilu0_binsearchILj256ELj64ELb1EfEEviPKiS2_PT2_S2_PiS2_S5_S5_d21rocsparse_index_base_imNS_24const_host_device_scalarIfEENS7_IdEENS7_IS3_EEb.uses_flat_scratch, 0
	.set _ZN9rocsparseL17csrilu0_binsearchILj256ELj64ELb1EfEEviPKiS2_PT2_S2_PiS2_S5_S5_d21rocsparse_index_base_imNS_24const_host_device_scalarIfEENS7_IdEENS7_IS3_EEb.has_dyn_sized_stack, 0
	.set _ZN9rocsparseL17csrilu0_binsearchILj256ELj64ELb1EfEEviPKiS2_PT2_S2_PiS2_S5_S5_d21rocsparse_index_base_imNS_24const_host_device_scalarIfEENS7_IdEENS7_IS3_EEb.has_recursion, 0
	.set _ZN9rocsparseL17csrilu0_binsearchILj256ELj64ELb1EfEEviPKiS2_PT2_S2_PiS2_S5_S5_d21rocsparse_index_base_imNS_24const_host_device_scalarIfEENS7_IdEENS7_IS3_EEb.has_indirect_call, 0
	.section	.AMDGPU.csdata,"",@progbits
; Kernel info:
; codeLenInByte = 2048
; TotalNumSgprs: 33
; NumVgprs: 24
; ScratchSize: 0
; MemoryBound: 0
; FloatMode: 240
; IeeeMode: 1
; LDSByteSize: 0 bytes/workgroup (compile time only)
; SGPRBlocks: 0
; VGPRBlocks: 2
; NumSGPRsForWavesPerEU: 33
; NumVGPRsForWavesPerEU: 24
; Occupancy: 16
; WaveLimiterHint : 1
; COMPUTE_PGM_RSRC2:SCRATCH_EN: 0
; COMPUTE_PGM_RSRC2:USER_SGPR: 2
; COMPUTE_PGM_RSRC2:TRAP_HANDLER: 0
; COMPUTE_PGM_RSRC2:TGID_X_EN: 1
; COMPUTE_PGM_RSRC2:TGID_Y_EN: 0
; COMPUTE_PGM_RSRC2:TGID_Z_EN: 0
; COMPUTE_PGM_RSRC2:TIDIG_COMP_CNT: 0
	.section	.text._ZN9rocsparseL12csrilu0_hashILj256ELj32ELj1EfEEviPKiS2_PT2_S2_PiS2_S5_S5_d21rocsparse_index_base_imNS_24const_host_device_scalarIfEENS7_IdEENS7_IS3_EEb,"axG",@progbits,_ZN9rocsparseL12csrilu0_hashILj256ELj32ELj1EfEEviPKiS2_PT2_S2_PiS2_S5_S5_d21rocsparse_index_base_imNS_24const_host_device_scalarIfEENS7_IdEENS7_IS3_EEb,comdat
	.globl	_ZN9rocsparseL12csrilu0_hashILj256ELj32ELj1EfEEviPKiS2_PT2_S2_PiS2_S5_S5_d21rocsparse_index_base_imNS_24const_host_device_scalarIfEENS7_IdEENS7_IS3_EEb ; -- Begin function _ZN9rocsparseL12csrilu0_hashILj256ELj32ELj1EfEEviPKiS2_PT2_S2_PiS2_S5_S5_d21rocsparse_index_base_imNS_24const_host_device_scalarIfEENS7_IdEENS7_IS3_EEb
	.p2align	8
	.type	_ZN9rocsparseL12csrilu0_hashILj256ELj32ELj1EfEEviPKiS2_PT2_S2_PiS2_S5_S5_d21rocsparse_index_base_imNS_24const_host_device_scalarIfEENS7_IdEENS7_IS3_EEb,@function
_ZN9rocsparseL12csrilu0_hashILj256ELj32ELj1EfEEviPKiS2_PT2_S2_PiS2_S5_S5_d21rocsparse_index_base_imNS_24const_host_device_scalarIfEENS7_IdEENS7_IS3_EEb: ; @_ZN9rocsparseL12csrilu0_hashILj256ELj32ELj1EfEEviPKiS2_PT2_S2_PiS2_S5_S5_d21rocsparse_index_base_imNS_24const_host_device_scalarIfEENS7_IdEENS7_IS3_EEb
; %bb.0:
	s_clause 0x2
	s_load_b32 s2, s[0:1], 0x78
	s_load_b64 s[28:29], s[0:1], 0x50
	s_load_b256 s[20:27], s[0:1], 0x58
	s_wait_kmcnt 0x0
	s_bitcmp1_b32 s2, 0
	s_cselect_b32 s2, -1, 0
	s_cmp_eq_u32 s29, 0
	s_cselect_b32 s4, -1, 0
	s_cmp_lg_u32 s29, 0
	s_cselect_b32 s29, -1, 0
	s_or_b32 s6, s4, s2
	s_delay_alu instid0(SALU_CYCLE_1)
	s_xor_b32 s5, s6, -1
	s_and_b32 s2, s4, exec_lo
	s_cselect_b32 s3, 0, s25
	s_cselect_b32 s2, 0, s24
	;; [unrolled: 1-line block ×3, first 2 shown]
	s_and_b32 vcc_lo, exec_lo, s6
	s_cbranch_vccnz .LBB1_2
; %bb.1:
	s_load_b32 s30, s[22:23], 0x0
	s_mov_b64 s[2:3], s[24:25]
.LBB1_2:
	v_cndmask_b32_e64 v1, 0, 1, s5
	v_dual_mov_b32 v2, s2 :: v_dual_mov_b32 v3, s3
	s_and_not1_b32 vcc_lo, exec_lo, s5
	s_cbranch_vccnz .LBB1_4
; %bb.3:
	v_dual_mov_b32 v2, s24 :: v_dual_mov_b32 v3, s25
	flat_load_b64 v[2:3], v[2:3]
.LBB1_4:
	s_delay_alu instid0(VALU_DEP_2)
	v_cmp_ne_u32_e32 vcc_lo, 1, v1
	s_and_b32 s2, s4, exec_lo
	s_cselect_b32 s3, 0, s26
	s_cbranch_vccnz .LBB1_6
; %bb.5:
	s_load_b32 s3, s[26:27], 0x0
.LBB1_6:
	s_load_b32 s2, s[0:1], 0x0
	v_and_b32_e32 v8, 0xe0, v0
	v_lshrrev_b32_e32 v1, 5, v0
	s_lshl_b32 s4, ttmp9, 3
	v_and_b32_e32 v12, 31, v0
	v_mov_b32_e32 v4, -1
	v_lshl_or_b32 v13, v8, 2, 0x400
	s_wait_alu 0xfffe
	v_and_or_b32 v0, 0x7fffff8, s4, v1
	s_delay_alu instid0(VALU_DEP_2)
	v_lshl_or_b32 v1, v12, 2, v13
	ds_store_b32 v1, v4
	s_wait_loadcnt_dscnt 0x0
	global_inv scope:SCOPE_SE
	s_wait_kmcnt 0x0
	v_cmp_gt_i32_e32 vcc_lo, s2, v0
	s_and_saveexec_b32 s2, vcc_lo
	s_cbranch_execz .LBB1_78
; %bb.7:
	s_load_b512 s[4:19], s[0:1], 0x8
	v_lshlrev_b32_e32 v0, 2, v0
	v_lshlrev_b32_e32 v14, 2, v8
	s_mov_b32 s2, exec_lo
	s_wait_kmcnt 0x0
	global_load_b32 v4, v0, s[14:15]
	s_wait_loadcnt 0x0
	v_ashrrev_i32_e32 v5, 31, v4
	s_delay_alu instid0(VALU_DEP_1) | instskip(NEXT) | instid1(VALU_DEP_1)
	v_lshlrev_b64_e32 v[0:1], 2, v[4:5]
	v_add_co_u32 v5, vcc_lo, s4, v0
	s_delay_alu instid0(VALU_DEP_1)
	v_add_co_ci_u32_e64 v6, null, s5, v1, vcc_lo
	v_add_co_u32 v9, vcc_lo, s10, v0
	s_wait_alu 0xfffd
	v_add_co_ci_u32_e64 v10, null, s11, v1, vcc_lo
	global_load_b64 v[6:7], v[5:6], off
	global_load_b32 v5, v[9:10], off
	s_wait_loadcnt 0x1
	v_subrev_nc_u32_e32 v6, s28, v6
	v_subrev_nc_u32_e32 v9, s28, v7
	s_delay_alu instid0(VALU_DEP_2) | instskip(NEXT) | instid1(VALU_DEP_1)
	v_add_nc_u32_e32 v7, v6, v12
	v_cmpx_lt_i32_e64 v7, v9
	s_cbranch_execz .LBB1_30
; %bb.8:
	v_mov_b32_e32 v10, -1
	s_mov_b32 s14, 0
	s_branch .LBB1_10
.LBB1_9:                                ;   in Loop: Header=BB1_10 Depth=1
	s_or_b32 exec_lo, exec_lo, s15
	v_add_nc_u32_e32 v7, 32, v7
	s_delay_alu instid0(VALU_DEP_1) | instskip(SKIP_1) | instid1(SALU_CYCLE_1)
	v_cmp_ge_i32_e32 vcc_lo, v7, v9
	s_or_b32 s14, vcc_lo, s14
	s_and_not1_b32 exec_lo, exec_lo, s14
	s_cbranch_execz .LBB1_30
.LBB1_10:                               ; =>This Loop Header: Depth=1
                                        ;     Child Loop BB1_19 Depth 2
	v_ashrrev_i32_e32 v8, 31, v7
	v_mov_b32_e32 v11, 32
	s_mov_b32 s15, 0
                                        ; implicit-def: $sgpr22
                                        ; implicit-def: $sgpr23
                                        ; implicit-def: $sgpr24
	s_delay_alu instid0(VALU_DEP_2) | instskip(NEXT) | instid1(VALU_DEP_1)
	v_lshlrev_b64_e32 v[15:16], 2, v[7:8]
	v_add_co_u32 v15, vcc_lo, s6, v15
	s_wait_alu 0xfffd
	s_delay_alu instid0(VALU_DEP_2)
	v_add_co_ci_u32_e64 v16, null, s7, v16, vcc_lo
	global_load_b32 v8, v[15:16], off
	s_wait_loadcnt 0x0
	v_mul_lo_u32 v16, v8, 7
	s_branch .LBB1_19
.LBB1_11:                               ;   in Loop: Header=BB1_19 Depth=2
	s_or_b32 exec_lo, exec_lo, s38
	s_delay_alu instid0(SALU_CYCLE_1)
	s_or_not1_b32 s36, s36, exec_lo
	s_or_not1_b32 s37, s37, exec_lo
.LBB1_12:                               ;   in Loop: Header=BB1_19 Depth=2
	s_or_b32 exec_lo, exec_lo, s35
	s_delay_alu instid0(SALU_CYCLE_1)
	s_and_b32 s36, s36, exec_lo
	s_or_not1_b32 s35, s37, exec_lo
.LBB1_13:                               ;   in Loop: Header=BB1_19 Depth=2
	s_or_b32 exec_lo, exec_lo, s34
	s_delay_alu instid0(SALU_CYCLE_1)
	s_or_not1_b32 s34, s36, exec_lo
	s_or_not1_b32 s35, s35, exec_lo
.LBB1_14:                               ;   in Loop: Header=BB1_19 Depth=2
	s_or_b32 exec_lo, exec_lo, s33
	s_delay_alu instid0(SALU_CYCLE_1)
	s_and_b32 s34, s34, exec_lo
	s_or_not1_b32 s33, s35, exec_lo
.LBB1_15:                               ;   in Loop: Header=BB1_19 Depth=2
	s_or_b32 exec_lo, exec_lo, s31
	s_delay_alu instid0(SALU_CYCLE_1)
	s_or_not1_b32 s31, s34, exec_lo
	s_or_not1_b32 s33, s33, exec_lo
.LBB1_16:                               ;   in Loop: Header=BB1_19 Depth=2
	s_or_b32 exec_lo, exec_lo, s27
	s_delay_alu instid0(SALU_CYCLE_1)
	s_and_b32 s31, s31, exec_lo
	s_or_not1_b32 s27, s33, exec_lo
.LBB1_17:                               ;   in Loop: Header=BB1_19 Depth=2
	s_or_b32 exec_lo, exec_lo, s26
	s_wait_alu 0xfffe
	s_and_not1_b32 s24, s24, exec_lo
	s_and_b32 s26, s31, exec_lo
	s_and_not1_b32 s23, s23, exec_lo
	s_and_b32 s27, s27, exec_lo
	s_wait_alu 0xfffe
	s_or_b32 s24, s24, s26
	s_or_b32 s23, s23, s27
.LBB1_18:                               ;   in Loop: Header=BB1_19 Depth=2
	s_wait_alu 0xfffe
	s_or_b32 exec_lo, exec_lo, s25
	s_delay_alu instid0(SALU_CYCLE_1)
	s_and_b32 s25, exec_lo, s23
	s_wait_alu 0xfffe
	s_or_b32 s15, s25, s15
	s_and_not1_b32 s22, s22, exec_lo
	s_and_b32 s25, s24, exec_lo
	s_wait_alu 0xfffe
	s_or_b32 s22, s22, s25
	s_and_not1_b32 exec_lo, exec_lo, s15
	s_cbranch_execz .LBB1_28
.LBB1_19:                               ;   Parent Loop BB1_10 Depth=1
                                        ; =>  This Inner Loop Header: Depth=2
	s_delay_alu instid0(VALU_DEP_1) | instskip(SKIP_3) | instid1(VALU_DEP_1)
	v_and_b32_e32 v15, 31, v16
	s_or_b32 s24, s24, exec_lo
	s_or_b32 s23, s23, exec_lo
	s_mov_b32 s25, exec_lo
	v_lshl_add_u32 v17, v15, 2, v13
	ds_load_b32 v18, v17
	s_wait_dscnt 0x0
	v_cmpx_ne_u32_e64 v18, v8
	s_cbranch_execz .LBB1_18
; %bb.20:                               ;   in Loop: Header=BB1_19 Depth=2
	ds_cmpstore_rtn_b32 v17, v17, v8, v10
	s_mov_b32 s27, -1
	s_mov_b32 s31, 0
	s_mov_b32 s26, exec_lo
	s_wait_dscnt 0x0
	v_cmpx_ne_u32_e32 -1, v17
	s_cbranch_execz .LBB1_17
; %bb.21:                               ;   in Loop: Header=BB1_19 Depth=2
	v_add_nc_u32_e32 v15, 1, v16
	s_mov_b32 s33, -1
	s_mov_b32 s31, -1
	s_mov_b32 s27, exec_lo
	s_delay_alu instid0(VALU_DEP_1) | instskip(NEXT) | instid1(VALU_DEP_1)
	v_and_b32_e32 v15, 31, v15
	v_lshl_add_u32 v17, v15, 2, v13
	ds_load_b32 v18, v17
	s_wait_dscnt 0x0
	v_cmpx_ne_u32_e64 v18, v8
	s_cbranch_execz .LBB1_16
; %bb.22:                               ;   in Loop: Header=BB1_19 Depth=2
	ds_cmpstore_rtn_b32 v17, v17, v8, v10
	s_mov_b32 s34, 0
	s_mov_b32 s31, exec_lo
	s_wait_dscnt 0x0
	v_cmpx_ne_u32_e32 -1, v17
	s_cbranch_execz .LBB1_15
; %bb.23:                               ;   in Loop: Header=BB1_19 Depth=2
	v_add_nc_u32_e32 v15, 2, v16
	s_mov_b32 s35, -1
	s_mov_b32 s34, -1
	s_mov_b32 s33, exec_lo
	s_delay_alu instid0(VALU_DEP_1) | instskip(NEXT) | instid1(VALU_DEP_1)
	v_and_b32_e32 v15, 31, v15
	v_lshl_add_u32 v17, v15, 2, v13
	ds_load_b32 v18, v17
	s_wait_dscnt 0x0
	v_cmpx_ne_u32_e64 v18, v8
	s_cbranch_execz .LBB1_14
; %bb.24:                               ;   in Loop: Header=BB1_19 Depth=2
	ds_cmpstore_rtn_b32 v17, v17, v8, v10
	s_mov_b32 s36, 0
	s_mov_b32 s34, exec_lo
	s_wait_dscnt 0x0
	v_cmpx_ne_u32_e32 -1, v17
	s_cbranch_execz .LBB1_13
; %bb.25:                               ;   in Loop: Header=BB1_19 Depth=2
	v_add_nc_u32_e32 v15, 3, v16
	s_mov_b32 s37, -1
	s_mov_b32 s36, -1
	s_delay_alu instid0(VALU_DEP_1) | instskip(NEXT) | instid1(VALU_DEP_1)
	v_and_b32_e32 v15, 31, v15
	v_lshl_add_u32 v17, v15, 2, v13
	ds_load_b32 v16, v17
	s_wait_dscnt 0x0
	v_cmp_ne_u32_e32 vcc_lo, v16, v8
                                        ; implicit-def: $vgpr16
	s_and_saveexec_b32 s35, vcc_lo
	s_cbranch_execz .LBB1_12
; %bb.26:                               ;   in Loop: Header=BB1_19 Depth=2
	ds_cmpstore_rtn_b32 v16, v17, v8, v10
	s_mov_b32 s36, 0
	s_wait_dscnt 0x0
	v_cmp_ne_u32_e32 vcc_lo, -1, v16
                                        ; implicit-def: $vgpr16
	s_and_saveexec_b32 s38, vcc_lo
	s_cbranch_execz .LBB1_11
; %bb.27:                               ;   in Loop: Header=BB1_19 Depth=2
	v_add_nc_u32_e32 v11, -4, v11
	v_add_nc_u32_e32 v16, 1, v15
	s_mov_b32 s36, exec_lo
	s_delay_alu instid0(VALU_DEP_2)
	v_cmp_eq_u32_e32 vcc_lo, 0, v11
	s_or_not1_b32 s37, vcc_lo, exec_lo
	s_branch .LBB1_11
.LBB1_28:                               ;   in Loop: Header=BB1_10 Depth=1
	s_or_b32 exec_lo, exec_lo, s15
	s_xor_b32 s15, s22, -1
	s_delay_alu instid0(SALU_CYCLE_1) | instskip(NEXT) | instid1(SALU_CYCLE_1)
	s_and_saveexec_b32 s22, s15
	s_xor_b32 s15, exec_lo, s22
	s_cbranch_execz .LBB1_9
; %bb.29:                               ;   in Loop: Header=BB1_10 Depth=1
	v_lshl_add_u32 v8, v15, 2, v14
	ds_store_b32 v8, v7
	s_branch .LBB1_9
.LBB1_30:
	s_wait_alu 0xfffe
	s_or_b32 exec_lo, exec_lo, s2
	s_delay_alu instid0(SALU_CYCLE_1)
	s_mov_b32 s2, exec_lo
	s_wait_loadcnt_dscnt 0x0
	global_inv scope:SCOPE_SE
	v_cmpx_lt_i32_e64 v6, v5
	s_cbranch_execz .LBB1_60
; %bb.31:
	v_add_nc_u32_e32 v15, 1, v12
	s_mov_b32 s14, 0
	s_branch .LBB1_34
.LBB1_32:                               ;   in Loop: Header=BB1_34 Depth=1
	s_or_b32 exec_lo, exec_lo, s22
	v_add_nc_u32_e32 v6, 1, v6
	s_delay_alu instid0(VALU_DEP_1)
	v_cmp_ge_i32_e32 vcc_lo, v6, v5
	s_or_not1_b32 s22, vcc_lo, exec_lo
.LBB1_33:                               ;   in Loop: Header=BB1_34 Depth=1
	s_or_b32 exec_lo, exec_lo, s15
	s_delay_alu instid0(SALU_CYCLE_1) | instskip(NEXT) | instid1(SALU_CYCLE_1)
	s_and_b32 s15, exec_lo, s22
	s_or_b32 s14, s15, s14
	s_delay_alu instid0(SALU_CYCLE_1)
	s_and_not1_b32 exec_lo, exec_lo, s14
	s_cbranch_execz .LBB1_60
.LBB1_34:                               ; =>This Loop Header: Depth=1
                                        ;     Child Loop BB1_35 Depth 2
                                        ;     Child Loop BB1_40 Depth 2
                                        ;       Child Loop BB1_49 Depth 3
	v_ashrrev_i32_e32 v7, 31, v6
	s_mov_b32 s15, 0
	s_delay_alu instid0(VALU_DEP_1) | instskip(NEXT) | instid1(VALU_DEP_1)
	v_lshlrev_b64_e32 v[8:9], 2, v[6:7]
	v_add_co_u32 v10, vcc_lo, s6, v8
	s_wait_alu 0xfffd
	s_delay_alu instid0(VALU_DEP_2)
	v_add_co_ci_u32_e64 v11, null, s7, v9, vcc_lo
	v_add_co_u32 v8, vcc_lo, s8, v8
	s_wait_alu 0xfffd
	v_add_co_ci_u32_e64 v9, null, s9, v9, vcc_lo
	global_load_b32 v7, v[10:11], off
	s_wait_loadcnt 0x0
	v_subrev_nc_u32_e32 v10, s28, v7
	s_delay_alu instid0(VALU_DEP_1) | instskip(NEXT) | instid1(VALU_DEP_1)
	v_ashrrev_i32_e32 v11, 31, v10
	v_lshlrev_b64_e32 v[10:11], 2, v[10:11]
	s_delay_alu instid0(VALU_DEP_1) | instskip(SKIP_1) | instid1(VALU_DEP_2)
	v_add_co_u32 v18, vcc_lo, s4, v10
	s_wait_alu 0xfffd
	v_add_co_ci_u32_e64 v19, null, s5, v11, vcc_lo
	v_add_co_u32 v20, vcc_lo, s10, v10
	s_wait_alu 0xfffd
	v_add_co_ci_u32_e64 v21, null, s11, v11, vcc_lo
	global_load_b32 v17, v[8:9], off
	global_load_b32 v7, v[18:19], off offset:4
	global_load_b32 v18, v[20:21], off
	v_add_co_u32 v10, vcc_lo, s12, v10
	s_wait_alu 0xfffd
	v_add_co_ci_u32_e64 v11, null, s13, v11, vcc_lo
.LBB1_35:                               ;   Parent Loop BB1_34 Depth=1
                                        ; =>  This Inner Loop Header: Depth=2
	global_load_b32 v16, v[10:11], off scope:SCOPE_DEV
	s_wait_loadcnt 0x0
	v_cmp_ne_u32_e32 vcc_lo, 0, v16
	s_or_b32 s15, vcc_lo, s15
	s_delay_alu instid0(SALU_CYCLE_1)
	s_and_not1_b32 exec_lo, exec_lo, s15
	s_cbranch_execnz .LBB1_35
; %bb.36:                               ;   in Loop: Header=BB1_34 Depth=1
	s_or_b32 exec_lo, exec_lo, s15
	v_subrev_nc_u32_e32 v16, s28, v7
	v_cmp_eq_u32_e32 vcc_lo, -1, v18
	global_inv scope:SCOPE_DEV
	s_mov_b32 s22, -1
	s_mov_b32 s15, exec_lo
	v_add_nc_u32_e32 v7, -1, v16
	s_wait_alu 0xfffd
	s_delay_alu instid0(VALU_DEP_1) | instskip(NEXT) | instid1(VALU_DEP_1)
	v_cndmask_b32_e32 v10, v18, v7, vcc_lo
	v_ashrrev_i32_e32 v11, 31, v10
	s_delay_alu instid0(VALU_DEP_1) | instskip(NEXT) | instid1(VALU_DEP_1)
	v_lshlrev_b64_e32 v[18:19], 2, v[10:11]
	v_add_co_u32 v18, vcc_lo, s8, v18
	s_wait_alu 0xfffd
	s_delay_alu instid0(VALU_DEP_2)
	v_add_co_ci_u32_e64 v19, null, s9, v19, vcc_lo
	global_load_b32 v11, v[18:19], off
	s_wait_loadcnt 0x0
	v_cmpx_neq_f32_e32 0, v11
	s_cbranch_execz .LBB1_33
; %bb.37:                               ;   in Loop: Header=BB1_34 Depth=1
	v_div_scale_f32 v7, null, v11, v11, v17
	s_mov_b32 s22, exec_lo
	v_rcp_f32_e32 v18, v7
	s_delay_alu instid0(TRANS32_DEP_1) | instskip(NEXT) | instid1(VALU_DEP_1)
	v_fma_f32 v19, -v7, v18, 1.0
	v_fmac_f32_e32 v18, v19, v18
	v_div_scale_f32 v19, vcc_lo, v17, v11, v17
	s_delay_alu instid0(VALU_DEP_1) | instskip(NEXT) | instid1(VALU_DEP_1)
	v_mul_f32_e32 v20, v19, v18
	v_fma_f32 v21, -v7, v20, v19
	s_delay_alu instid0(VALU_DEP_1) | instskip(NEXT) | instid1(VALU_DEP_1)
	v_fmac_f32_e32 v20, v21, v18
	v_fma_f32 v7, -v7, v20, v19
	s_wait_alu 0xfffd
	s_delay_alu instid0(VALU_DEP_1) | instskip(SKIP_1) | instid1(VALU_DEP_2)
	v_div_fmas_f32 v18, v7, v18, v20
	v_add_nc_u32_e32 v7, v15, v10
	v_div_fixup_f32 v10, v18, v11, v17
	global_store_b32 v[8:9], v10, off
	v_cmpx_lt_i32_e64 v7, v16
	s_cbranch_execz .LBB1_32
; %bb.38:                               ;   in Loop: Header=BB1_34 Depth=1
	s_mov_b32 s23, 0
	s_branch .LBB1_40
.LBB1_39:                               ;   in Loop: Header=BB1_40 Depth=2
	s_wait_alu 0xfffe
	s_or_b32 exec_lo, exec_lo, s24
	v_add_nc_u32_e32 v7, 32, v7
	s_delay_alu instid0(VALU_DEP_1) | instskip(SKIP_1) | instid1(SALU_CYCLE_1)
	v_cmp_ge_i32_e32 vcc_lo, v7, v16
	s_or_b32 s23, vcc_lo, s23
	s_and_not1_b32 exec_lo, exec_lo, s23
	s_cbranch_execz .LBB1_32
.LBB1_40:                               ;   Parent Loop BB1_34 Depth=1
                                        ; =>  This Loop Header: Depth=2
                                        ;       Child Loop BB1_49 Depth 3
	v_ashrrev_i32_e32 v8, 31, v7
	s_mov_b32 s24, 0
                                        ; implicit-def: $sgpr25
                                        ; implicit-def: $sgpr26
                                        ; implicit-def: $sgpr27
	s_delay_alu instid0(VALU_DEP_1) | instskip(NEXT) | instid1(VALU_DEP_1)
	v_lshlrev_b64_e32 v[8:9], 2, v[7:8]
	v_add_co_u32 v17, vcc_lo, s6, v8
	s_wait_alu 0xfffd
	s_delay_alu instid0(VALU_DEP_2)
	v_add_co_ci_u32_e64 v18, null, s7, v9, vcc_lo
	global_load_b32 v11, v[17:18], off
	v_mov_b32_e32 v17, 32
	s_wait_loadcnt 0x0
	v_mul_lo_u32 v19, v11, 7
	s_branch .LBB1_49
.LBB1_41:                               ;   in Loop: Header=BB1_49 Depth=3
	s_or_b32 exec_lo, exec_lo, s41
	s_delay_alu instid0(SALU_CYCLE_1)
	s_or_not1_b32 s39, s39, exec_lo
	s_or_not1_b32 s40, s40, exec_lo
.LBB1_42:                               ;   in Loop: Header=BB1_49 Depth=3
	s_or_b32 exec_lo, exec_lo, s38
	s_delay_alu instid0(SALU_CYCLE_1)
	s_and_b32 s39, s39, exec_lo
	s_or_not1_b32 s38, s40, exec_lo
.LBB1_43:                               ;   in Loop: Header=BB1_49 Depth=3
	s_or_b32 exec_lo, exec_lo, s37
	s_delay_alu instid0(SALU_CYCLE_1)
	s_or_not1_b32 s37, s39, exec_lo
	s_or_not1_b32 s38, s38, exec_lo
.LBB1_44:                               ;   in Loop: Header=BB1_49 Depth=3
	s_or_b32 exec_lo, exec_lo, s36
	s_delay_alu instid0(SALU_CYCLE_1)
	s_and_b32 s37, s37, exec_lo
	s_or_not1_b32 s36, s38, exec_lo
.LBB1_45:                               ;   in Loop: Header=BB1_49 Depth=3
	s_or_b32 exec_lo, exec_lo, s35
	s_delay_alu instid0(SALU_CYCLE_1)
	s_or_not1_b32 s35, s37, exec_lo
	s_or_not1_b32 s36, s36, exec_lo
.LBB1_46:                               ;   in Loop: Header=BB1_49 Depth=3
	s_or_b32 exec_lo, exec_lo, s34
	s_delay_alu instid0(SALU_CYCLE_1)
	s_and_b32 s35, s35, exec_lo
	s_or_not1_b32 s34, s36, exec_lo
.LBB1_47:                               ;   in Loop: Header=BB1_49 Depth=3
	s_or_b32 exec_lo, exec_lo, s33
	s_delay_alu instid0(SALU_CYCLE_1)
	s_and_not1_b32 s27, s27, exec_lo
	s_and_b32 s33, s35, exec_lo
	s_and_not1_b32 s26, s26, exec_lo
	s_and_b32 s34, s34, exec_lo
	s_or_b32 s27, s27, s33
	s_or_b32 s26, s26, s34
.LBB1_48:                               ;   in Loop: Header=BB1_49 Depth=3
	s_or_b32 exec_lo, exec_lo, s31
	s_delay_alu instid0(SALU_CYCLE_1)
	s_and_b32 s31, exec_lo, s26
	s_wait_alu 0xfffe
	s_or_b32 s24, s31, s24
	s_and_not1_b32 s25, s25, exec_lo
	s_and_b32 s31, s27, exec_lo
	s_wait_alu 0xfffe
	s_or_b32 s25, s25, s31
	s_and_not1_b32 exec_lo, exec_lo, s24
	s_cbranch_execz .LBB1_58
.LBB1_49:                               ;   Parent Loop BB1_34 Depth=1
                                        ;     Parent Loop BB1_40 Depth=2
                                        ; =>    This Inner Loop Header: Depth=3
	s_delay_alu instid0(VALU_DEP_1) | instskip(SKIP_3) | instid1(VALU_DEP_1)
	v_and_b32_e32 v18, 31, v19
	s_or_b32 s27, s27, exec_lo
	s_or_b32 s26, s26, exec_lo
	s_mov_b32 s31, exec_lo
	v_lshl_add_u32 v20, v18, 2, v13
	ds_load_b32 v20, v20
	s_wait_dscnt 0x0
	v_cmpx_ne_u32_e32 -1, v20
	s_cbranch_execz .LBB1_48
; %bb.50:                               ;   in Loop: Header=BB1_49 Depth=3
	s_mov_b32 s34, -1
	s_mov_b32 s35, 0
	s_mov_b32 s33, exec_lo
	v_cmpx_ne_u32_e64 v20, v11
	s_cbranch_execz .LBB1_47
; %bb.51:                               ;   in Loop: Header=BB1_49 Depth=3
	v_add_nc_u32_e32 v18, 1, v19
	s_mov_b32 s36, -1
	s_mov_b32 s35, -1
	s_mov_b32 s34, exec_lo
	s_delay_alu instid0(VALU_DEP_1) | instskip(NEXT) | instid1(VALU_DEP_1)
	v_and_b32_e32 v18, 31, v18
	v_lshl_add_u32 v20, v18, 2, v13
	ds_load_b32 v20, v20
	s_wait_dscnt 0x0
	v_cmpx_ne_u32_e32 -1, v20
	s_cbranch_execz .LBB1_46
; %bb.52:                               ;   in Loop: Header=BB1_49 Depth=3
	s_mov_b32 s37, 0
	s_mov_b32 s35, exec_lo
	v_cmpx_ne_u32_e64 v20, v11
	s_cbranch_execz .LBB1_45
; %bb.53:                               ;   in Loop: Header=BB1_49 Depth=3
	v_add_nc_u32_e32 v18, 2, v19
	s_mov_b32 s38, -1
	s_mov_b32 s37, -1
	s_mov_b32 s36, exec_lo
	s_delay_alu instid0(VALU_DEP_1) | instskip(NEXT) | instid1(VALU_DEP_1)
	v_and_b32_e32 v18, 31, v18
	v_lshl_add_u32 v20, v18, 2, v13
	ds_load_b32 v20, v20
	s_wait_dscnt 0x0
	v_cmpx_ne_u32_e32 -1, v20
	s_cbranch_execz .LBB1_44
; %bb.54:                               ;   in Loop: Header=BB1_49 Depth=3
	s_mov_b32 s39, 0
	s_mov_b32 s37, exec_lo
	v_cmpx_ne_u32_e64 v20, v11
	s_cbranch_execz .LBB1_43
; %bb.55:                               ;   in Loop: Header=BB1_49 Depth=3
	v_add_nc_u32_e32 v18, 3, v19
	s_mov_b32 s40, -1
	s_mov_b32 s39, -1
	s_mov_b32 s38, exec_lo
	s_delay_alu instid0(VALU_DEP_1) | instskip(NEXT) | instid1(VALU_DEP_1)
	v_and_b32_e32 v18, 31, v18
	v_lshl_add_u32 v19, v18, 2, v13
	ds_load_b32 v20, v19
                                        ; implicit-def: $vgpr19
	s_wait_dscnt 0x0
	v_cmpx_ne_u32_e32 -1, v20
	s_cbranch_execz .LBB1_42
; %bb.56:                               ;   in Loop: Header=BB1_49 Depth=3
	s_mov_b32 s39, 0
	s_mov_b32 s41, exec_lo
                                        ; implicit-def: $vgpr19
	v_cmpx_ne_u32_e64 v20, v11
	s_cbranch_execz .LBB1_41
; %bb.57:                               ;   in Loop: Header=BB1_49 Depth=3
	v_add_nc_u32_e32 v17, -4, v17
	v_add_nc_u32_e32 v19, 1, v18
	s_mov_b32 s39, exec_lo
	s_delay_alu instid0(VALU_DEP_2)
	v_cmp_eq_u32_e32 vcc_lo, 0, v17
	s_or_not1_b32 s40, vcc_lo, exec_lo
	s_branch .LBB1_41
.LBB1_58:                               ;   in Loop: Header=BB1_40 Depth=2
	s_or_b32 exec_lo, exec_lo, s24
	s_wait_alu 0xfffe
	s_xor_b32 s24, s25, -1
	s_wait_alu 0xfffe
	s_and_saveexec_b32 s25, s24
	s_wait_alu 0xfffe
	s_xor_b32 s24, exec_lo, s25
	s_cbranch_execz .LBB1_39
; %bb.59:                               ;   in Loop: Header=BB1_40 Depth=2
	v_lshl_add_u32 v11, v18, 2, v14
	v_add_co_u32 v8, vcc_lo, s8, v8
	s_wait_alu 0xfffd
	v_add_co_ci_u32_e64 v9, null, s9, v9, vcc_lo
	ds_load_b32 v17, v11
	s_wait_dscnt 0x0
	v_ashrrev_i32_e32 v18, 31, v17
	s_delay_alu instid0(VALU_DEP_1) | instskip(NEXT) | instid1(VALU_DEP_1)
	v_lshlrev_b64_e32 v[17:18], 2, v[17:18]
	v_add_co_u32 v17, vcc_lo, s8, v17
	s_wait_alu 0xfffd
	s_delay_alu instid0(VALU_DEP_2)
	v_add_co_ci_u32_e64 v18, null, s9, v18, vcc_lo
	s_clause 0x1
	global_load_b32 v8, v[8:9], off
	global_load_b32 v9, v[17:18], off
	s_wait_loadcnt 0x0
	v_fma_f32 v8, -v10, v8, v9
	global_store_b32 v[17:18], v8, off
	s_branch .LBB1_39
.LBB1_60:
	s_wait_alu 0xfffe
	s_or_b32 exec_lo, exec_lo, s2
	s_mov_b32 s5, -1
	s_mov_b32 s4, exec_lo
	s_wait_loadcnt 0x0
	s_wait_storecnt 0x0
	global_inv scope:SCOPE_SE
	v_cmpx_lt_i32_e32 -1, v5
	s_cbranch_execz .LBB1_76
; %bb.61:
	v_mov_b32_e32 v6, 0
	v_cmp_eq_u32_e64 s2, 0, v12
	s_delay_alu instid0(VALU_DEP_2) | instskip(NEXT) | instid1(VALU_DEP_1)
	v_lshlrev_b64_e32 v[5:6], 2, v[5:6]
	v_add_co_u32 v7, vcc_lo, s8, v5
	s_wait_alu 0xfffd
	s_delay_alu instid0(VALU_DEP_2)
	v_add_co_ci_u32_e64 v8, null, s9, v6, vcc_lo
	global_load_b32 v9, v[7:8], off
	s_wait_loadcnt 0x0
	v_cmp_gt_f32_e32 vcc_lo, 0, v9
	s_wait_alu 0xfffd
	v_cndmask_b32_e64 v5, v9, -v9, vcc_lo
	s_and_not1_b32 vcc_lo, exec_lo, s29
	s_delay_alu instid0(VALU_DEP_1)
	v_cvt_f64_f32_e32 v[5:6], v5
	s_wait_alu 0xfffe
	s_cbranch_vccnz .LBB1_65
; %bb.62:
	v_cvt_f64_f32_e32 v[10:11], s30
	s_cmp_eq_u64 s[20:21], 8
	s_cselect_b32 vcc_lo, -1, 0
	s_wait_alu 0xfffe
	s_delay_alu instid0(VALU_DEP_1) | instskip(NEXT) | instid1(VALU_DEP_1)
	v_dual_cndmask_b32 v3, v11, v3 :: v_dual_cndmask_b32 v2, v10, v2
	v_cmp_ge_f64_e32 vcc_lo, v[2:3], v[5:6]
	s_and_b32 s6, s2, vcc_lo
	s_wait_alu 0xfffe
	s_and_saveexec_b32 s5, s6
	s_cbranch_execz .LBB1_64
; %bb.63:
	v_mov_b32_e32 v2, s3
	global_store_b32 v[7:8], v2, off
	s_wait_storecnt 0x0
	global_inv scope:SCOPE_DEV
.LBB1_64:
	s_wait_alu 0xfffe
	s_or_b32 exec_lo, exec_lo, s5
	s_mov_b32 s5, 0
.LBB1_65:
	s_wait_alu 0xfffe
	s_and_not1_b32 vcc_lo, exec_lo, s5
	s_wait_alu 0xfffe
	s_cbranch_vccnz .LBB1_76
; %bb.66:
	s_load_b64 s[0:1], s[0:1], 0x48
	v_add_nc_u32_e32 v2, s28, v4
	s_wait_kmcnt 0x0
	s_delay_alu instid0(VALU_DEP_2)
	v_cmp_ge_f64_e32 vcc_lo, s[0:1], v[5:6]
	s_and_b32 s1, s2, vcc_lo
	s_wait_alu 0xfffe
	s_and_saveexec_b32 s0, s1
	s_cbranch_execz .LBB1_71
; %bb.67:
	s_mov_b32 s3, exec_lo
	s_brev_b32 s1, -2
.LBB1_68:                               ; =>This Inner Loop Header: Depth=1
	s_wait_alu 0xfffe
	s_ctz_i32_b32 s5, s3
	s_wait_alu 0xfffe
	v_readlane_b32 s6, v2, s5
	s_lshl_b32 s5, 1, s5
	s_wait_alu 0xfffe
	s_and_not1_b32 s3, s3, s5
	s_min_i32 s1, s1, s6
	s_wait_alu 0xfffe
	s_cmp_lg_u32 s3, 0
	s_cbranch_scc1 .LBB1_68
; %bb.69:
	v_mbcnt_lo_u32_b32 v3, exec_lo, 0
	s_mov_b32 s3, exec_lo
	s_delay_alu instid0(VALU_DEP_1)
	v_cmpx_eq_u32_e32 0, v3
	s_wait_alu 0xfffe
	s_xor_b32 s3, exec_lo, s3
	s_cbranch_execz .LBB1_71
; %bb.70:
	v_dual_mov_b32 v3, 0 :: v_dual_mov_b32 v4, s1
	global_atomic_min_i32 v3, v4, s[18:19] scope:SCOPE_DEV
.LBB1_71:
	s_wait_alu 0xfffe
	s_or_b32 exec_lo, exec_lo, s0
	v_cmp_eq_f32_e32 vcc_lo, 0, v9
	s_and_b32 s0, s2, vcc_lo
	s_wait_alu 0xfffe
	s_and_b32 exec_lo, exec_lo, s0
	s_cbranch_execz .LBB1_76
; %bb.72:
	s_mov_b32 s1, exec_lo
	s_brev_b32 s0, -2
.LBB1_73:                               ; =>This Inner Loop Header: Depth=1
	s_wait_alu 0xfffe
	s_ctz_i32_b32 s2, s1
	s_wait_alu 0xfffe
	v_readlane_b32 s3, v2, s2
	s_lshl_b32 s2, 1, s2
	s_wait_alu 0xfffe
	s_and_not1_b32 s1, s1, s2
	s_min_i32 s0, s0, s3
	s_wait_alu 0xfffe
	s_cmp_lg_u32 s1, 0
	s_cbranch_scc1 .LBB1_73
; %bb.74:
	v_mbcnt_lo_u32_b32 v2, exec_lo, 0
	s_mov_b32 s1, exec_lo
	s_delay_alu instid0(VALU_DEP_1)
	v_cmpx_eq_u32_e32 0, v2
	s_wait_alu 0xfffe
	s_xor_b32 s1, exec_lo, s1
	s_cbranch_execz .LBB1_76
; %bb.75:
	v_dual_mov_b32 v2, 0 :: v_dual_mov_b32 v3, s0
	global_atomic_min_i32 v2, v3, s[16:17] scope:SCOPE_DEV
.LBB1_76:
	s_wait_alu 0xfffe
	s_or_b32 exec_lo, exec_lo, s4
	v_cmp_eq_u32_e32 vcc_lo, 0, v12
	s_wait_loadcnt 0x0
	s_wait_storecnt 0x0
	global_inv scope:SCOPE_DEV
	s_and_b32 exec_lo, exec_lo, vcc_lo
	s_cbranch_execz .LBB1_78
; %bb.77:
	v_add_co_u32 v0, vcc_lo, s12, v0
	s_wait_alu 0xfffd
	v_add_co_ci_u32_e64 v1, null, s13, v1, vcc_lo
	v_mov_b32_e32 v2, 1
	s_wait_loadcnt 0x0
	global_store_b32 v[0:1], v2, off scope:SCOPE_DEV
.LBB1_78:
	s_endpgm
	.section	.rodata,"a",@progbits
	.p2align	6, 0x0
	.amdhsa_kernel _ZN9rocsparseL12csrilu0_hashILj256ELj32ELj1EfEEviPKiS2_PT2_S2_PiS2_S5_S5_d21rocsparse_index_base_imNS_24const_host_device_scalarIfEENS7_IdEENS7_IS3_EEb
		.amdhsa_group_segment_fixed_size 2048
		.amdhsa_private_segment_fixed_size 0
		.amdhsa_kernarg_size 124
		.amdhsa_user_sgpr_count 2
		.amdhsa_user_sgpr_dispatch_ptr 0
		.amdhsa_user_sgpr_queue_ptr 0
		.amdhsa_user_sgpr_kernarg_segment_ptr 1
		.amdhsa_user_sgpr_dispatch_id 0
		.amdhsa_user_sgpr_private_segment_size 0
		.amdhsa_wavefront_size32 1
		.amdhsa_uses_dynamic_stack 0
		.amdhsa_enable_private_segment 0
		.amdhsa_system_sgpr_workgroup_id_x 1
		.amdhsa_system_sgpr_workgroup_id_y 0
		.amdhsa_system_sgpr_workgroup_id_z 0
		.amdhsa_system_sgpr_workgroup_info 0
		.amdhsa_system_vgpr_workitem_id 0
		.amdhsa_next_free_vgpr 22
		.amdhsa_next_free_sgpr 42
		.amdhsa_reserve_vcc 1
		.amdhsa_float_round_mode_32 0
		.amdhsa_float_round_mode_16_64 0
		.amdhsa_float_denorm_mode_32 3
		.amdhsa_float_denorm_mode_16_64 3
		.amdhsa_fp16_overflow 0
		.amdhsa_workgroup_processor_mode 1
		.amdhsa_memory_ordered 1
		.amdhsa_forward_progress 1
		.amdhsa_inst_pref_size 25
		.amdhsa_round_robin_scheduling 0
		.amdhsa_exception_fp_ieee_invalid_op 0
		.amdhsa_exception_fp_denorm_src 0
		.amdhsa_exception_fp_ieee_div_zero 0
		.amdhsa_exception_fp_ieee_overflow 0
		.amdhsa_exception_fp_ieee_underflow 0
		.amdhsa_exception_fp_ieee_inexact 0
		.amdhsa_exception_int_div_zero 0
	.end_amdhsa_kernel
	.section	.text._ZN9rocsparseL12csrilu0_hashILj256ELj32ELj1EfEEviPKiS2_PT2_S2_PiS2_S5_S5_d21rocsparse_index_base_imNS_24const_host_device_scalarIfEENS7_IdEENS7_IS3_EEb,"axG",@progbits,_ZN9rocsparseL12csrilu0_hashILj256ELj32ELj1EfEEviPKiS2_PT2_S2_PiS2_S5_S5_d21rocsparse_index_base_imNS_24const_host_device_scalarIfEENS7_IdEENS7_IS3_EEb,comdat
.Lfunc_end1:
	.size	_ZN9rocsparseL12csrilu0_hashILj256ELj32ELj1EfEEviPKiS2_PT2_S2_PiS2_S5_S5_d21rocsparse_index_base_imNS_24const_host_device_scalarIfEENS7_IdEENS7_IS3_EEb, .Lfunc_end1-_ZN9rocsparseL12csrilu0_hashILj256ELj32ELj1EfEEviPKiS2_PT2_S2_PiS2_S5_S5_d21rocsparse_index_base_imNS_24const_host_device_scalarIfEENS7_IdEENS7_IS3_EEb
                                        ; -- End function
	.set _ZN9rocsparseL12csrilu0_hashILj256ELj32ELj1EfEEviPKiS2_PT2_S2_PiS2_S5_S5_d21rocsparse_index_base_imNS_24const_host_device_scalarIfEENS7_IdEENS7_IS3_EEb.num_vgpr, 22
	.set _ZN9rocsparseL12csrilu0_hashILj256ELj32ELj1EfEEviPKiS2_PT2_S2_PiS2_S5_S5_d21rocsparse_index_base_imNS_24const_host_device_scalarIfEENS7_IdEENS7_IS3_EEb.num_agpr, 0
	.set _ZN9rocsparseL12csrilu0_hashILj256ELj32ELj1EfEEviPKiS2_PT2_S2_PiS2_S5_S5_d21rocsparse_index_base_imNS_24const_host_device_scalarIfEENS7_IdEENS7_IS3_EEb.numbered_sgpr, 42
	.set _ZN9rocsparseL12csrilu0_hashILj256ELj32ELj1EfEEviPKiS2_PT2_S2_PiS2_S5_S5_d21rocsparse_index_base_imNS_24const_host_device_scalarIfEENS7_IdEENS7_IS3_EEb.num_named_barrier, 0
	.set _ZN9rocsparseL12csrilu0_hashILj256ELj32ELj1EfEEviPKiS2_PT2_S2_PiS2_S5_S5_d21rocsparse_index_base_imNS_24const_host_device_scalarIfEENS7_IdEENS7_IS3_EEb.private_seg_size, 0
	.set _ZN9rocsparseL12csrilu0_hashILj256ELj32ELj1EfEEviPKiS2_PT2_S2_PiS2_S5_S5_d21rocsparse_index_base_imNS_24const_host_device_scalarIfEENS7_IdEENS7_IS3_EEb.uses_vcc, 1
	.set _ZN9rocsparseL12csrilu0_hashILj256ELj32ELj1EfEEviPKiS2_PT2_S2_PiS2_S5_S5_d21rocsparse_index_base_imNS_24const_host_device_scalarIfEENS7_IdEENS7_IS3_EEb.uses_flat_scratch, 0
	.set _ZN9rocsparseL12csrilu0_hashILj256ELj32ELj1EfEEviPKiS2_PT2_S2_PiS2_S5_S5_d21rocsparse_index_base_imNS_24const_host_device_scalarIfEENS7_IdEENS7_IS3_EEb.has_dyn_sized_stack, 0
	.set _ZN9rocsparseL12csrilu0_hashILj256ELj32ELj1EfEEviPKiS2_PT2_S2_PiS2_S5_S5_d21rocsparse_index_base_imNS_24const_host_device_scalarIfEENS7_IdEENS7_IS3_EEb.has_recursion, 0
	.set _ZN9rocsparseL12csrilu0_hashILj256ELj32ELj1EfEEviPKiS2_PT2_S2_PiS2_S5_S5_d21rocsparse_index_base_imNS_24const_host_device_scalarIfEENS7_IdEENS7_IS3_EEb.has_indirect_call, 0
	.section	.AMDGPU.csdata,"",@progbits
; Kernel info:
; codeLenInByte = 3076
; TotalNumSgprs: 44
; NumVgprs: 22
; ScratchSize: 0
; MemoryBound: 0
; FloatMode: 240
; IeeeMode: 1
; LDSByteSize: 2048 bytes/workgroup (compile time only)
; SGPRBlocks: 0
; VGPRBlocks: 2
; NumSGPRsForWavesPerEU: 44
; NumVGPRsForWavesPerEU: 22
; Occupancy: 16
; WaveLimiterHint : 1
; COMPUTE_PGM_RSRC2:SCRATCH_EN: 0
; COMPUTE_PGM_RSRC2:USER_SGPR: 2
; COMPUTE_PGM_RSRC2:TRAP_HANDLER: 0
; COMPUTE_PGM_RSRC2:TGID_X_EN: 1
; COMPUTE_PGM_RSRC2:TGID_Y_EN: 0
; COMPUTE_PGM_RSRC2:TGID_Z_EN: 0
; COMPUTE_PGM_RSRC2:TIDIG_COMP_CNT: 0
	.section	.text._ZN9rocsparseL12csrilu0_hashILj256ELj32ELj2EfEEviPKiS2_PT2_S2_PiS2_S5_S5_d21rocsparse_index_base_imNS_24const_host_device_scalarIfEENS7_IdEENS7_IS3_EEb,"axG",@progbits,_ZN9rocsparseL12csrilu0_hashILj256ELj32ELj2EfEEviPKiS2_PT2_S2_PiS2_S5_S5_d21rocsparse_index_base_imNS_24const_host_device_scalarIfEENS7_IdEENS7_IS3_EEb,comdat
	.globl	_ZN9rocsparseL12csrilu0_hashILj256ELj32ELj2EfEEviPKiS2_PT2_S2_PiS2_S5_S5_d21rocsparse_index_base_imNS_24const_host_device_scalarIfEENS7_IdEENS7_IS3_EEb ; -- Begin function _ZN9rocsparseL12csrilu0_hashILj256ELj32ELj2EfEEviPKiS2_PT2_S2_PiS2_S5_S5_d21rocsparse_index_base_imNS_24const_host_device_scalarIfEENS7_IdEENS7_IS3_EEb
	.p2align	8
	.type	_ZN9rocsparseL12csrilu0_hashILj256ELj32ELj2EfEEviPKiS2_PT2_S2_PiS2_S5_S5_d21rocsparse_index_base_imNS_24const_host_device_scalarIfEENS7_IdEENS7_IS3_EEb,@function
_ZN9rocsparseL12csrilu0_hashILj256ELj32ELj2EfEEviPKiS2_PT2_S2_PiS2_S5_S5_d21rocsparse_index_base_imNS_24const_host_device_scalarIfEENS7_IdEENS7_IS3_EEb: ; @_ZN9rocsparseL12csrilu0_hashILj256ELj32ELj2EfEEviPKiS2_PT2_S2_PiS2_S5_S5_d21rocsparse_index_base_imNS_24const_host_device_scalarIfEENS7_IdEENS7_IS3_EEb
; %bb.0:
	s_clause 0x2
	s_load_b32 s2, s[0:1], 0x78
	s_load_b64 s[28:29], s[0:1], 0x50
	s_load_b256 s[20:27], s[0:1], 0x58
	s_wait_kmcnt 0x0
	s_bitcmp1_b32 s2, 0
	s_cselect_b32 s2, -1, 0
	s_cmp_eq_u32 s29, 0
	s_cselect_b32 s4, -1, 0
	s_cmp_lg_u32 s29, 0
	s_cselect_b32 s29, -1, 0
	s_or_b32 s6, s4, s2
	s_delay_alu instid0(SALU_CYCLE_1)
	s_xor_b32 s5, s6, -1
	s_and_b32 s2, s4, exec_lo
	s_cselect_b32 s3, 0, s25
	s_cselect_b32 s2, 0, s24
	;; [unrolled: 1-line block ×3, first 2 shown]
	s_and_b32 vcc_lo, exec_lo, s6
	s_cbranch_vccnz .LBB2_2
; %bb.1:
	s_load_b32 s30, s[22:23], 0x0
	s_mov_b64 s[2:3], s[24:25]
.LBB2_2:
	v_cndmask_b32_e64 v1, 0, 1, s5
	v_dual_mov_b32 v4, s3 :: v_dual_mov_b32 v3, s2
	s_and_not1_b32 vcc_lo, exec_lo, s5
	s_cbranch_vccnz .LBB2_4
; %bb.3:
	v_dual_mov_b32 v2, s24 :: v_dual_mov_b32 v3, s25
	flat_load_b64 v[3:4], v[2:3]
.LBB2_4:
	s_delay_alu instid0(VALU_DEP_2)
	v_cmp_ne_u32_e32 vcc_lo, 1, v1
	s_and_b32 s2, s4, exec_lo
	s_cselect_b32 s3, 0, s26
	s_mov_b32 s2, 0
	s_cbranch_vccnz .LBB2_6
; %bb.5:
	s_load_b32 s3, s[26:27], 0x0
.LBB2_6:
	v_lshrrev_b32_e32 v1, 5, v0
	v_and_b32_e32 v13, 31, v0
	s_delay_alu instid0(VALU_DEP_2) | instskip(NEXT) | instid1(VALU_DEP_2)
	v_lshlrev_b32_e32 v5, 8, v1
	v_lshlrev_b32_e32 v6, 2, v13
	s_delay_alu instid0(VALU_DEP_1)
	v_or3_b32 v5, v5, v6, 0x800
	v_mov_b32_e32 v6, -1
	v_or_b32_e32 v2, 0xffffffe0, v13
.LBB2_7:                                ; =>This Inner Loop Header: Depth=1
	s_delay_alu instid0(VALU_DEP_1)
	v_add_co_u32 v2, s4, v2, 32
	s_xor_b32 s4, s4, -1
	ds_store_b32 v5, v6
	v_add_nc_u32_e32 v5, 0x80, v5
	s_wait_alu 0xfffe
	s_and_b32 s4, exec_lo, s4
	s_wait_alu 0xfffe
	s_or_b32 s2, s4, s2
	s_wait_alu 0xfffe
	s_and_not1_b32 exec_lo, exec_lo, s2
	s_cbranch_execnz .LBB2_7
; %bb.8:
	s_or_b32 exec_lo, exec_lo, s2
	s_load_b32 s2, s[0:1], 0x0
	s_lshl_b32 s4, ttmp9, 3
	s_wait_loadcnt_dscnt 0x0
	global_inv scope:SCOPE_SE
	s_wait_alu 0xfffe
	v_and_or_b32 v1, 0x7fffff8, s4, v1
	s_wait_kmcnt 0x0
	s_delay_alu instid0(VALU_DEP_1)
	v_cmp_gt_i32_e32 vcc_lo, s2, v1
	s_and_saveexec_b32 s2, vcc_lo
	s_cbranch_execz .LBB2_80
; %bb.9:
	s_load_b512 s[4:19], s[0:1], 0x8
	v_lshlrev_b32_e32 v1, 2, v1
	v_lshlrev_b32_e32 v0, 3, v0
	s_mov_b32 s2, exec_lo
	s_delay_alu instid0(VALU_DEP_1) | instskip(NEXT) | instid1(VALU_DEP_1)
	v_and_b32_e32 v0, 0x700, v0
	v_or_b32_e32 v14, 0x800, v0
	s_wait_kmcnt 0x0
	global_load_b32 v5, v1, s[14:15]
	s_wait_loadcnt 0x0
	v_ashrrev_i32_e32 v6, 31, v5
	s_delay_alu instid0(VALU_DEP_1) | instskip(NEXT) | instid1(VALU_DEP_1)
	v_lshlrev_b64_e32 v[1:2], 2, v[5:6]
	v_add_co_u32 v6, vcc_lo, s4, v1
	s_delay_alu instid0(VALU_DEP_1)
	v_add_co_ci_u32_e64 v7, null, s5, v2, vcc_lo
	v_add_co_u32 v9, vcc_lo, s10, v1
	s_wait_alu 0xfffd
	v_add_co_ci_u32_e64 v10, null, s11, v2, vcc_lo
	global_load_b64 v[7:8], v[6:7], off
	global_load_b32 v6, v[9:10], off
	s_wait_loadcnt 0x1
	v_subrev_nc_u32_e32 v7, s28, v7
	v_subrev_nc_u32_e32 v10, s28, v8
	s_delay_alu instid0(VALU_DEP_2) | instskip(NEXT) | instid1(VALU_DEP_1)
	v_add_nc_u32_e32 v8, v7, v13
	v_cmpx_lt_i32_e64 v8, v10
	s_cbranch_execz .LBB2_32
; %bb.10:
	v_mov_b32_e32 v11, -1
	s_mov_b32 s14, 0
	s_branch .LBB2_12
.LBB2_11:                               ;   in Loop: Header=BB2_12 Depth=1
	s_or_b32 exec_lo, exec_lo, s15
	v_add_nc_u32_e32 v8, 32, v8
	s_delay_alu instid0(VALU_DEP_1) | instskip(SKIP_1) | instid1(SALU_CYCLE_1)
	v_cmp_ge_i32_e32 vcc_lo, v8, v10
	s_or_b32 s14, vcc_lo, s14
	s_and_not1_b32 exec_lo, exec_lo, s14
	s_cbranch_execz .LBB2_32
.LBB2_12:                               ; =>This Loop Header: Depth=1
                                        ;     Child Loop BB2_21 Depth 2
	v_ashrrev_i32_e32 v9, 31, v8
	v_mov_b32_e32 v12, 64
	s_mov_b32 s15, 0
                                        ; implicit-def: $sgpr22
                                        ; implicit-def: $sgpr23
                                        ; implicit-def: $sgpr24
	s_delay_alu instid0(VALU_DEP_2) | instskip(NEXT) | instid1(VALU_DEP_1)
	v_lshlrev_b64_e32 v[15:16], 2, v[8:9]
	v_add_co_u32 v15, vcc_lo, s6, v15
	s_wait_alu 0xfffd
	s_delay_alu instid0(VALU_DEP_2)
	v_add_co_ci_u32_e64 v16, null, s7, v16, vcc_lo
	global_load_b32 v9, v[15:16], off
	s_wait_loadcnt 0x0
	v_mul_lo_u32 v16, v9, 39
	s_branch .LBB2_21
.LBB2_13:                               ;   in Loop: Header=BB2_21 Depth=2
	s_or_b32 exec_lo, exec_lo, s38
	s_delay_alu instid0(SALU_CYCLE_1)
	s_or_not1_b32 s36, s36, exec_lo
	s_or_not1_b32 s37, s37, exec_lo
.LBB2_14:                               ;   in Loop: Header=BB2_21 Depth=2
	s_or_b32 exec_lo, exec_lo, s35
	s_delay_alu instid0(SALU_CYCLE_1)
	s_and_b32 s36, s36, exec_lo
	s_or_not1_b32 s35, s37, exec_lo
.LBB2_15:                               ;   in Loop: Header=BB2_21 Depth=2
	s_or_b32 exec_lo, exec_lo, s34
	s_delay_alu instid0(SALU_CYCLE_1)
	s_or_not1_b32 s34, s36, exec_lo
	s_or_not1_b32 s35, s35, exec_lo
.LBB2_16:                               ;   in Loop: Header=BB2_21 Depth=2
	s_or_b32 exec_lo, exec_lo, s33
	s_delay_alu instid0(SALU_CYCLE_1)
	s_and_b32 s34, s34, exec_lo
	s_or_not1_b32 s33, s35, exec_lo
.LBB2_17:                               ;   in Loop: Header=BB2_21 Depth=2
	s_or_b32 exec_lo, exec_lo, s31
	s_delay_alu instid0(SALU_CYCLE_1)
	s_or_not1_b32 s31, s34, exec_lo
	s_or_not1_b32 s33, s33, exec_lo
.LBB2_18:                               ;   in Loop: Header=BB2_21 Depth=2
	s_or_b32 exec_lo, exec_lo, s27
	s_delay_alu instid0(SALU_CYCLE_1)
	s_and_b32 s31, s31, exec_lo
	s_or_not1_b32 s27, s33, exec_lo
.LBB2_19:                               ;   in Loop: Header=BB2_21 Depth=2
	s_or_b32 exec_lo, exec_lo, s26
	s_wait_alu 0xfffe
	s_and_not1_b32 s24, s24, exec_lo
	s_and_b32 s26, s31, exec_lo
	s_and_not1_b32 s23, s23, exec_lo
	s_and_b32 s27, s27, exec_lo
	s_wait_alu 0xfffe
	s_or_b32 s24, s24, s26
	s_or_b32 s23, s23, s27
.LBB2_20:                               ;   in Loop: Header=BB2_21 Depth=2
	s_wait_alu 0xfffe
	s_or_b32 exec_lo, exec_lo, s25
	s_delay_alu instid0(SALU_CYCLE_1)
	s_and_b32 s25, exec_lo, s23
	s_wait_alu 0xfffe
	s_or_b32 s15, s25, s15
	s_and_not1_b32 s22, s22, exec_lo
	s_and_b32 s25, s24, exec_lo
	s_wait_alu 0xfffe
	s_or_b32 s22, s22, s25
	s_and_not1_b32 exec_lo, exec_lo, s15
	s_cbranch_execz .LBB2_30
.LBB2_21:                               ;   Parent Loop BB2_12 Depth=1
                                        ; =>  This Inner Loop Header: Depth=2
	s_delay_alu instid0(VALU_DEP_1) | instskip(SKIP_3) | instid1(VALU_DEP_1)
	v_and_b32_e32 v15, 63, v16
	s_or_b32 s24, s24, exec_lo
	s_or_b32 s23, s23, exec_lo
	s_mov_b32 s25, exec_lo
	v_lshl_add_u32 v17, v15, 2, v14
	ds_load_b32 v18, v17
	s_wait_dscnt 0x0
	v_cmpx_ne_u32_e64 v18, v9
	s_cbranch_execz .LBB2_20
; %bb.22:                               ;   in Loop: Header=BB2_21 Depth=2
	ds_cmpstore_rtn_b32 v17, v17, v9, v11
	s_mov_b32 s27, -1
	s_mov_b32 s31, 0
	s_mov_b32 s26, exec_lo
	s_wait_dscnt 0x0
	v_cmpx_ne_u32_e32 -1, v17
	s_cbranch_execz .LBB2_19
; %bb.23:                               ;   in Loop: Header=BB2_21 Depth=2
	v_add_nc_u32_e32 v15, 1, v16
	s_mov_b32 s33, -1
	s_mov_b32 s31, -1
	s_mov_b32 s27, exec_lo
	s_delay_alu instid0(VALU_DEP_1) | instskip(NEXT) | instid1(VALU_DEP_1)
	v_and_b32_e32 v15, 63, v15
	v_lshl_add_u32 v17, v15, 2, v14
	ds_load_b32 v18, v17
	s_wait_dscnt 0x0
	v_cmpx_ne_u32_e64 v18, v9
	s_cbranch_execz .LBB2_18
; %bb.24:                               ;   in Loop: Header=BB2_21 Depth=2
	ds_cmpstore_rtn_b32 v17, v17, v9, v11
	s_mov_b32 s34, 0
	s_mov_b32 s31, exec_lo
	s_wait_dscnt 0x0
	v_cmpx_ne_u32_e32 -1, v17
	s_cbranch_execz .LBB2_17
; %bb.25:                               ;   in Loop: Header=BB2_21 Depth=2
	v_add_nc_u32_e32 v15, 2, v16
	s_mov_b32 s35, -1
	s_mov_b32 s34, -1
	s_mov_b32 s33, exec_lo
	s_delay_alu instid0(VALU_DEP_1) | instskip(NEXT) | instid1(VALU_DEP_1)
	v_and_b32_e32 v15, 63, v15
	v_lshl_add_u32 v17, v15, 2, v14
	ds_load_b32 v18, v17
	s_wait_dscnt 0x0
	v_cmpx_ne_u32_e64 v18, v9
	s_cbranch_execz .LBB2_16
; %bb.26:                               ;   in Loop: Header=BB2_21 Depth=2
	ds_cmpstore_rtn_b32 v17, v17, v9, v11
	s_mov_b32 s36, 0
	s_mov_b32 s34, exec_lo
	s_wait_dscnt 0x0
	v_cmpx_ne_u32_e32 -1, v17
	s_cbranch_execz .LBB2_15
; %bb.27:                               ;   in Loop: Header=BB2_21 Depth=2
	v_add_nc_u32_e32 v15, 3, v16
	s_mov_b32 s37, -1
	s_mov_b32 s36, -1
	s_delay_alu instid0(VALU_DEP_1) | instskip(NEXT) | instid1(VALU_DEP_1)
	v_and_b32_e32 v15, 63, v15
	v_lshl_add_u32 v17, v15, 2, v14
	ds_load_b32 v16, v17
	s_wait_dscnt 0x0
	v_cmp_ne_u32_e32 vcc_lo, v16, v9
                                        ; implicit-def: $vgpr16
	s_and_saveexec_b32 s35, vcc_lo
	s_cbranch_execz .LBB2_14
; %bb.28:                               ;   in Loop: Header=BB2_21 Depth=2
	ds_cmpstore_rtn_b32 v16, v17, v9, v11
	s_mov_b32 s36, 0
	s_wait_dscnt 0x0
	v_cmp_ne_u32_e32 vcc_lo, -1, v16
                                        ; implicit-def: $vgpr16
	s_and_saveexec_b32 s38, vcc_lo
	s_cbranch_execz .LBB2_13
; %bb.29:                               ;   in Loop: Header=BB2_21 Depth=2
	v_add_nc_u32_e32 v12, -4, v12
	v_add_nc_u32_e32 v16, 1, v15
	s_mov_b32 s36, exec_lo
	s_delay_alu instid0(VALU_DEP_2)
	v_cmp_eq_u32_e32 vcc_lo, 0, v12
	s_or_not1_b32 s37, vcc_lo, exec_lo
	s_branch .LBB2_13
.LBB2_30:                               ;   in Loop: Header=BB2_12 Depth=1
	s_or_b32 exec_lo, exec_lo, s15
	s_xor_b32 s15, s22, -1
	s_delay_alu instid0(SALU_CYCLE_1) | instskip(NEXT) | instid1(SALU_CYCLE_1)
	s_and_saveexec_b32 s22, s15
	s_xor_b32 s15, exec_lo, s22
	s_cbranch_execz .LBB2_11
; %bb.31:                               ;   in Loop: Header=BB2_12 Depth=1
	v_lshl_add_u32 v9, v15, 2, v0
	ds_store_b32 v9, v8
	s_branch .LBB2_11
.LBB2_32:
	s_wait_alu 0xfffe
	s_or_b32 exec_lo, exec_lo, s2
	s_delay_alu instid0(SALU_CYCLE_1)
	s_mov_b32 s2, exec_lo
	s_wait_loadcnt_dscnt 0x0
	global_inv scope:SCOPE_SE
	v_cmpx_lt_i32_e64 v7, v6
	s_cbranch_execz .LBB2_62
; %bb.33:
	v_add_nc_u32_e32 v15, 1, v13
	s_mov_b32 s14, 0
	s_branch .LBB2_36
.LBB2_34:                               ;   in Loop: Header=BB2_36 Depth=1
	s_or_b32 exec_lo, exec_lo, s22
	v_add_nc_u32_e32 v7, 1, v7
	s_delay_alu instid0(VALU_DEP_1)
	v_cmp_ge_i32_e32 vcc_lo, v7, v6
	s_or_not1_b32 s22, vcc_lo, exec_lo
.LBB2_35:                               ;   in Loop: Header=BB2_36 Depth=1
	s_or_b32 exec_lo, exec_lo, s15
	s_delay_alu instid0(SALU_CYCLE_1) | instskip(NEXT) | instid1(SALU_CYCLE_1)
	s_and_b32 s15, exec_lo, s22
	s_or_b32 s14, s15, s14
	s_delay_alu instid0(SALU_CYCLE_1)
	s_and_not1_b32 exec_lo, exec_lo, s14
	s_cbranch_execz .LBB2_62
.LBB2_36:                               ; =>This Loop Header: Depth=1
                                        ;     Child Loop BB2_37 Depth 2
                                        ;     Child Loop BB2_42 Depth 2
                                        ;       Child Loop BB2_51 Depth 3
	v_ashrrev_i32_e32 v8, 31, v7
	s_mov_b32 s15, 0
	s_delay_alu instid0(VALU_DEP_1) | instskip(NEXT) | instid1(VALU_DEP_1)
	v_lshlrev_b64_e32 v[9:10], 2, v[7:8]
	v_add_co_u32 v11, vcc_lo, s6, v9
	s_wait_alu 0xfffd
	s_delay_alu instid0(VALU_DEP_2)
	v_add_co_ci_u32_e64 v12, null, s7, v10, vcc_lo
	v_add_co_u32 v9, vcc_lo, s8, v9
	s_wait_alu 0xfffd
	v_add_co_ci_u32_e64 v10, null, s9, v10, vcc_lo
	global_load_b32 v8, v[11:12], off
	s_wait_loadcnt 0x0
	v_subrev_nc_u32_e32 v11, s28, v8
	s_delay_alu instid0(VALU_DEP_1) | instskip(NEXT) | instid1(VALU_DEP_1)
	v_ashrrev_i32_e32 v12, 31, v11
	v_lshlrev_b64_e32 v[11:12], 2, v[11:12]
	s_delay_alu instid0(VALU_DEP_1) | instskip(SKIP_1) | instid1(VALU_DEP_2)
	v_add_co_u32 v18, vcc_lo, s4, v11
	s_wait_alu 0xfffd
	v_add_co_ci_u32_e64 v19, null, s5, v12, vcc_lo
	v_add_co_u32 v20, vcc_lo, s10, v11
	s_wait_alu 0xfffd
	v_add_co_ci_u32_e64 v21, null, s11, v12, vcc_lo
	global_load_b32 v17, v[9:10], off
	global_load_b32 v8, v[18:19], off offset:4
	global_load_b32 v18, v[20:21], off
	v_add_co_u32 v11, vcc_lo, s12, v11
	s_wait_alu 0xfffd
	v_add_co_ci_u32_e64 v12, null, s13, v12, vcc_lo
.LBB2_37:                               ;   Parent Loop BB2_36 Depth=1
                                        ; =>  This Inner Loop Header: Depth=2
	global_load_b32 v16, v[11:12], off scope:SCOPE_DEV
	s_wait_loadcnt 0x0
	v_cmp_ne_u32_e32 vcc_lo, 0, v16
	s_or_b32 s15, vcc_lo, s15
	s_delay_alu instid0(SALU_CYCLE_1)
	s_and_not1_b32 exec_lo, exec_lo, s15
	s_cbranch_execnz .LBB2_37
; %bb.38:                               ;   in Loop: Header=BB2_36 Depth=1
	s_or_b32 exec_lo, exec_lo, s15
	v_subrev_nc_u32_e32 v16, s28, v8
	v_cmp_eq_u32_e32 vcc_lo, -1, v18
	global_inv scope:SCOPE_DEV
	s_mov_b32 s22, -1
	s_mov_b32 s15, exec_lo
	v_add_nc_u32_e32 v8, -1, v16
	s_wait_alu 0xfffd
	s_delay_alu instid0(VALU_DEP_1) | instskip(NEXT) | instid1(VALU_DEP_1)
	v_cndmask_b32_e32 v11, v18, v8, vcc_lo
	v_ashrrev_i32_e32 v12, 31, v11
	s_delay_alu instid0(VALU_DEP_1) | instskip(NEXT) | instid1(VALU_DEP_1)
	v_lshlrev_b64_e32 v[18:19], 2, v[11:12]
	v_add_co_u32 v18, vcc_lo, s8, v18
	s_wait_alu 0xfffd
	s_delay_alu instid0(VALU_DEP_2)
	v_add_co_ci_u32_e64 v19, null, s9, v19, vcc_lo
	global_load_b32 v12, v[18:19], off
	s_wait_loadcnt 0x0
	v_cmpx_neq_f32_e32 0, v12
	s_cbranch_execz .LBB2_35
; %bb.39:                               ;   in Loop: Header=BB2_36 Depth=1
	v_div_scale_f32 v8, null, v12, v12, v17
	s_mov_b32 s22, exec_lo
	v_rcp_f32_e32 v18, v8
	s_delay_alu instid0(TRANS32_DEP_1) | instskip(NEXT) | instid1(VALU_DEP_1)
	v_fma_f32 v19, -v8, v18, 1.0
	v_fmac_f32_e32 v18, v19, v18
	v_div_scale_f32 v19, vcc_lo, v17, v12, v17
	s_delay_alu instid0(VALU_DEP_1) | instskip(NEXT) | instid1(VALU_DEP_1)
	v_mul_f32_e32 v20, v19, v18
	v_fma_f32 v21, -v8, v20, v19
	s_delay_alu instid0(VALU_DEP_1) | instskip(NEXT) | instid1(VALU_DEP_1)
	v_fmac_f32_e32 v20, v21, v18
	v_fma_f32 v8, -v8, v20, v19
	s_wait_alu 0xfffd
	s_delay_alu instid0(VALU_DEP_1) | instskip(SKIP_1) | instid1(VALU_DEP_2)
	v_div_fmas_f32 v18, v8, v18, v20
	v_add_nc_u32_e32 v8, v15, v11
	v_div_fixup_f32 v11, v18, v12, v17
	global_store_b32 v[9:10], v11, off
	v_cmpx_lt_i32_e64 v8, v16
	s_cbranch_execz .LBB2_34
; %bb.40:                               ;   in Loop: Header=BB2_36 Depth=1
	s_mov_b32 s23, 0
	s_branch .LBB2_42
.LBB2_41:                               ;   in Loop: Header=BB2_42 Depth=2
	s_wait_alu 0xfffe
	s_or_b32 exec_lo, exec_lo, s24
	v_add_nc_u32_e32 v8, 32, v8
	s_delay_alu instid0(VALU_DEP_1) | instskip(SKIP_1) | instid1(SALU_CYCLE_1)
	v_cmp_ge_i32_e32 vcc_lo, v8, v16
	s_or_b32 s23, vcc_lo, s23
	s_and_not1_b32 exec_lo, exec_lo, s23
	s_cbranch_execz .LBB2_34
.LBB2_42:                               ;   Parent Loop BB2_36 Depth=1
                                        ; =>  This Loop Header: Depth=2
                                        ;       Child Loop BB2_51 Depth 3
	v_ashrrev_i32_e32 v9, 31, v8
	s_mov_b32 s24, 0
                                        ; implicit-def: $sgpr25
                                        ; implicit-def: $sgpr26
                                        ; implicit-def: $sgpr27
	s_delay_alu instid0(VALU_DEP_1) | instskip(NEXT) | instid1(VALU_DEP_1)
	v_lshlrev_b64_e32 v[9:10], 2, v[8:9]
	v_add_co_u32 v17, vcc_lo, s6, v9
	s_wait_alu 0xfffd
	s_delay_alu instid0(VALU_DEP_2)
	v_add_co_ci_u32_e64 v18, null, s7, v10, vcc_lo
	global_load_b32 v12, v[17:18], off
	v_mov_b32_e32 v17, 64
	s_wait_loadcnt 0x0
	v_mul_lo_u32 v19, v12, 39
	s_branch .LBB2_51
.LBB2_43:                               ;   in Loop: Header=BB2_51 Depth=3
	s_or_b32 exec_lo, exec_lo, s41
	s_delay_alu instid0(SALU_CYCLE_1)
	s_or_not1_b32 s39, s39, exec_lo
	s_or_not1_b32 s40, s40, exec_lo
.LBB2_44:                               ;   in Loop: Header=BB2_51 Depth=3
	s_or_b32 exec_lo, exec_lo, s38
	s_delay_alu instid0(SALU_CYCLE_1)
	s_and_b32 s39, s39, exec_lo
	s_or_not1_b32 s38, s40, exec_lo
.LBB2_45:                               ;   in Loop: Header=BB2_51 Depth=3
	s_or_b32 exec_lo, exec_lo, s37
	s_delay_alu instid0(SALU_CYCLE_1)
	s_or_not1_b32 s37, s39, exec_lo
	s_or_not1_b32 s38, s38, exec_lo
.LBB2_46:                               ;   in Loop: Header=BB2_51 Depth=3
	s_or_b32 exec_lo, exec_lo, s36
	s_delay_alu instid0(SALU_CYCLE_1)
	s_and_b32 s37, s37, exec_lo
	s_or_not1_b32 s36, s38, exec_lo
.LBB2_47:                               ;   in Loop: Header=BB2_51 Depth=3
	s_or_b32 exec_lo, exec_lo, s35
	s_delay_alu instid0(SALU_CYCLE_1)
	s_or_not1_b32 s35, s37, exec_lo
	s_or_not1_b32 s36, s36, exec_lo
.LBB2_48:                               ;   in Loop: Header=BB2_51 Depth=3
	s_or_b32 exec_lo, exec_lo, s34
	s_delay_alu instid0(SALU_CYCLE_1)
	s_and_b32 s35, s35, exec_lo
	s_or_not1_b32 s34, s36, exec_lo
.LBB2_49:                               ;   in Loop: Header=BB2_51 Depth=3
	s_or_b32 exec_lo, exec_lo, s33
	s_delay_alu instid0(SALU_CYCLE_1)
	s_and_not1_b32 s27, s27, exec_lo
	s_and_b32 s33, s35, exec_lo
	s_and_not1_b32 s26, s26, exec_lo
	s_and_b32 s34, s34, exec_lo
	s_or_b32 s27, s27, s33
	s_or_b32 s26, s26, s34
.LBB2_50:                               ;   in Loop: Header=BB2_51 Depth=3
	s_or_b32 exec_lo, exec_lo, s31
	s_delay_alu instid0(SALU_CYCLE_1)
	s_and_b32 s31, exec_lo, s26
	s_wait_alu 0xfffe
	s_or_b32 s24, s31, s24
	s_and_not1_b32 s25, s25, exec_lo
	s_and_b32 s31, s27, exec_lo
	s_wait_alu 0xfffe
	s_or_b32 s25, s25, s31
	s_and_not1_b32 exec_lo, exec_lo, s24
	s_cbranch_execz .LBB2_60
.LBB2_51:                               ;   Parent Loop BB2_36 Depth=1
                                        ;     Parent Loop BB2_42 Depth=2
                                        ; =>    This Inner Loop Header: Depth=3
	s_delay_alu instid0(VALU_DEP_1) | instskip(SKIP_3) | instid1(VALU_DEP_1)
	v_and_b32_e32 v18, 63, v19
	s_or_b32 s27, s27, exec_lo
	s_or_b32 s26, s26, exec_lo
	s_mov_b32 s31, exec_lo
	v_lshl_add_u32 v20, v18, 2, v14
	ds_load_b32 v20, v20
	s_wait_dscnt 0x0
	v_cmpx_ne_u32_e32 -1, v20
	s_cbranch_execz .LBB2_50
; %bb.52:                               ;   in Loop: Header=BB2_51 Depth=3
	s_mov_b32 s34, -1
	s_mov_b32 s35, 0
	s_mov_b32 s33, exec_lo
	v_cmpx_ne_u32_e64 v20, v12
	s_cbranch_execz .LBB2_49
; %bb.53:                               ;   in Loop: Header=BB2_51 Depth=3
	v_add_nc_u32_e32 v18, 1, v19
	s_mov_b32 s36, -1
	s_mov_b32 s35, -1
	s_mov_b32 s34, exec_lo
	s_delay_alu instid0(VALU_DEP_1) | instskip(NEXT) | instid1(VALU_DEP_1)
	v_and_b32_e32 v18, 63, v18
	v_lshl_add_u32 v20, v18, 2, v14
	ds_load_b32 v20, v20
	s_wait_dscnt 0x0
	v_cmpx_ne_u32_e32 -1, v20
	s_cbranch_execz .LBB2_48
; %bb.54:                               ;   in Loop: Header=BB2_51 Depth=3
	s_mov_b32 s37, 0
	s_mov_b32 s35, exec_lo
	v_cmpx_ne_u32_e64 v20, v12
	s_cbranch_execz .LBB2_47
; %bb.55:                               ;   in Loop: Header=BB2_51 Depth=3
	v_add_nc_u32_e32 v18, 2, v19
	s_mov_b32 s38, -1
	s_mov_b32 s37, -1
	s_mov_b32 s36, exec_lo
	s_delay_alu instid0(VALU_DEP_1) | instskip(NEXT) | instid1(VALU_DEP_1)
	v_and_b32_e32 v18, 63, v18
	v_lshl_add_u32 v20, v18, 2, v14
	ds_load_b32 v20, v20
	s_wait_dscnt 0x0
	v_cmpx_ne_u32_e32 -1, v20
	s_cbranch_execz .LBB2_46
; %bb.56:                               ;   in Loop: Header=BB2_51 Depth=3
	s_mov_b32 s39, 0
	s_mov_b32 s37, exec_lo
	v_cmpx_ne_u32_e64 v20, v12
	s_cbranch_execz .LBB2_45
; %bb.57:                               ;   in Loop: Header=BB2_51 Depth=3
	v_add_nc_u32_e32 v18, 3, v19
	s_mov_b32 s40, -1
	s_mov_b32 s39, -1
	s_mov_b32 s38, exec_lo
	s_delay_alu instid0(VALU_DEP_1) | instskip(NEXT) | instid1(VALU_DEP_1)
	v_and_b32_e32 v18, 63, v18
	v_lshl_add_u32 v19, v18, 2, v14
	ds_load_b32 v20, v19
                                        ; implicit-def: $vgpr19
	s_wait_dscnt 0x0
	v_cmpx_ne_u32_e32 -1, v20
	s_cbranch_execz .LBB2_44
; %bb.58:                               ;   in Loop: Header=BB2_51 Depth=3
	s_mov_b32 s39, 0
	s_mov_b32 s41, exec_lo
                                        ; implicit-def: $vgpr19
	v_cmpx_ne_u32_e64 v20, v12
	s_cbranch_execz .LBB2_43
; %bb.59:                               ;   in Loop: Header=BB2_51 Depth=3
	v_add_nc_u32_e32 v17, -4, v17
	v_add_nc_u32_e32 v19, 1, v18
	s_mov_b32 s39, exec_lo
	s_delay_alu instid0(VALU_DEP_2)
	v_cmp_eq_u32_e32 vcc_lo, 0, v17
	s_or_not1_b32 s40, vcc_lo, exec_lo
	s_branch .LBB2_43
.LBB2_60:                               ;   in Loop: Header=BB2_42 Depth=2
	s_or_b32 exec_lo, exec_lo, s24
	s_wait_alu 0xfffe
	s_xor_b32 s24, s25, -1
	s_wait_alu 0xfffe
	s_and_saveexec_b32 s25, s24
	s_wait_alu 0xfffe
	s_xor_b32 s24, exec_lo, s25
	s_cbranch_execz .LBB2_41
; %bb.61:                               ;   in Loop: Header=BB2_42 Depth=2
	v_lshl_add_u32 v12, v18, 2, v0
	v_add_co_u32 v9, vcc_lo, s8, v9
	s_wait_alu 0xfffd
	v_add_co_ci_u32_e64 v10, null, s9, v10, vcc_lo
	ds_load_b32 v17, v12
	s_wait_dscnt 0x0
	v_ashrrev_i32_e32 v18, 31, v17
	s_delay_alu instid0(VALU_DEP_1) | instskip(NEXT) | instid1(VALU_DEP_1)
	v_lshlrev_b64_e32 v[17:18], 2, v[17:18]
	v_add_co_u32 v17, vcc_lo, s8, v17
	s_wait_alu 0xfffd
	s_delay_alu instid0(VALU_DEP_2)
	v_add_co_ci_u32_e64 v18, null, s9, v18, vcc_lo
	s_clause 0x1
	global_load_b32 v9, v[9:10], off
	global_load_b32 v10, v[17:18], off
	s_wait_loadcnt 0x0
	v_fma_f32 v9, -v11, v9, v10
	global_store_b32 v[17:18], v9, off
	s_branch .LBB2_41
.LBB2_62:
	s_wait_alu 0xfffe
	s_or_b32 exec_lo, exec_lo, s2
	s_mov_b32 s5, -1
	s_mov_b32 s4, exec_lo
	s_wait_loadcnt 0x0
	s_wait_storecnt 0x0
	global_inv scope:SCOPE_SE
	v_cmpx_lt_i32_e32 -1, v6
	s_cbranch_execz .LBB2_78
; %bb.63:
	v_mov_b32_e32 v7, 0
	v_cmp_eq_u32_e64 s2, 0, v13
	s_delay_alu instid0(VALU_DEP_2) | instskip(NEXT) | instid1(VALU_DEP_1)
	v_lshlrev_b64_e32 v[6:7], 2, v[6:7]
	v_add_co_u32 v8, vcc_lo, s8, v6
	s_wait_alu 0xfffd
	s_delay_alu instid0(VALU_DEP_2)
	v_add_co_ci_u32_e64 v9, null, s9, v7, vcc_lo
	global_load_b32 v0, v[8:9], off
	s_wait_loadcnt 0x0
	v_cmp_gt_f32_e32 vcc_lo, 0, v0
	s_wait_alu 0xfffd
	v_cndmask_b32_e64 v6, v0, -v0, vcc_lo
	s_and_not1_b32 vcc_lo, exec_lo, s29
	s_delay_alu instid0(VALU_DEP_1)
	v_cvt_f64_f32_e32 v[6:7], v6
	s_wait_alu 0xfffe
	s_cbranch_vccnz .LBB2_67
; %bb.64:
	v_cvt_f64_f32_e32 v[10:11], s30
	s_cmp_eq_u64 s[20:21], 8
	s_cselect_b32 vcc_lo, -1, 0
	s_wait_alu 0xfffe
	s_delay_alu instid0(VALU_DEP_1) | instskip(NEXT) | instid1(VALU_DEP_1)
	v_dual_cndmask_b32 v4, v11, v4 :: v_dual_cndmask_b32 v3, v10, v3
	v_cmp_ge_f64_e32 vcc_lo, v[3:4], v[6:7]
	s_and_b32 s6, s2, vcc_lo
	s_wait_alu 0xfffe
	s_and_saveexec_b32 s5, s6
	s_cbranch_execz .LBB2_66
; %bb.65:
	v_mov_b32_e32 v3, s3
	global_store_b32 v[8:9], v3, off
	s_wait_storecnt 0x0
	global_inv scope:SCOPE_DEV
.LBB2_66:
	s_wait_alu 0xfffe
	s_or_b32 exec_lo, exec_lo, s5
	s_mov_b32 s5, 0
.LBB2_67:
	s_wait_alu 0xfffe
	s_and_not1_b32 vcc_lo, exec_lo, s5
	s_wait_alu 0xfffe
	s_cbranch_vccnz .LBB2_78
; %bb.68:
	s_load_b64 s[0:1], s[0:1], 0x48
	v_add_nc_u32_e32 v3, s28, v5
	s_wait_kmcnt 0x0
	s_delay_alu instid0(VALU_DEP_2)
	v_cmp_ge_f64_e32 vcc_lo, s[0:1], v[6:7]
	s_and_b32 s1, s2, vcc_lo
	s_wait_alu 0xfffe
	s_and_saveexec_b32 s0, s1
	s_cbranch_execz .LBB2_73
; %bb.69:
	s_mov_b32 s3, exec_lo
	s_brev_b32 s1, -2
.LBB2_70:                               ; =>This Inner Loop Header: Depth=1
	s_wait_alu 0xfffe
	s_ctz_i32_b32 s5, s3
	s_wait_alu 0xfffe
	v_readlane_b32 s6, v3, s5
	s_lshl_b32 s5, 1, s5
	s_wait_alu 0xfffe
	s_and_not1_b32 s3, s3, s5
	s_min_i32 s1, s1, s6
	s_wait_alu 0xfffe
	s_cmp_lg_u32 s3, 0
	s_cbranch_scc1 .LBB2_70
; %bb.71:
	v_mbcnt_lo_u32_b32 v4, exec_lo, 0
	s_mov_b32 s3, exec_lo
	s_delay_alu instid0(VALU_DEP_1)
	v_cmpx_eq_u32_e32 0, v4
	s_wait_alu 0xfffe
	s_xor_b32 s3, exec_lo, s3
	s_cbranch_execz .LBB2_73
; %bb.72:
	v_dual_mov_b32 v4, 0 :: v_dual_mov_b32 v5, s1
	global_atomic_min_i32 v4, v5, s[18:19] scope:SCOPE_DEV
.LBB2_73:
	s_wait_alu 0xfffe
	s_or_b32 exec_lo, exec_lo, s0
	v_cmp_eq_f32_e32 vcc_lo, 0, v0
	s_and_b32 s0, s2, vcc_lo
	s_wait_alu 0xfffe
	s_and_b32 exec_lo, exec_lo, s0
	s_cbranch_execz .LBB2_78
; %bb.74:
	s_mov_b32 s1, exec_lo
	s_brev_b32 s0, -2
.LBB2_75:                               ; =>This Inner Loop Header: Depth=1
	s_wait_alu 0xfffe
	s_ctz_i32_b32 s2, s1
	s_wait_alu 0xfffe
	v_readlane_b32 s3, v3, s2
	s_lshl_b32 s2, 1, s2
	s_wait_alu 0xfffe
	s_and_not1_b32 s1, s1, s2
	s_min_i32 s0, s0, s3
	s_wait_alu 0xfffe
	s_cmp_lg_u32 s1, 0
	s_cbranch_scc1 .LBB2_75
; %bb.76:
	v_mbcnt_lo_u32_b32 v0, exec_lo, 0
	s_mov_b32 s1, exec_lo
	s_delay_alu instid0(VALU_DEP_1)
	v_cmpx_eq_u32_e32 0, v0
	s_wait_alu 0xfffe
	s_xor_b32 s1, exec_lo, s1
	s_cbranch_execz .LBB2_78
; %bb.77:
	v_dual_mov_b32 v0, 0 :: v_dual_mov_b32 v3, s0
	global_atomic_min_i32 v0, v3, s[16:17] scope:SCOPE_DEV
.LBB2_78:
	s_wait_alu 0xfffe
	s_or_b32 exec_lo, exec_lo, s4
	v_cmp_eq_u32_e32 vcc_lo, 0, v13
	s_wait_loadcnt 0x0
	s_wait_storecnt 0x0
	global_inv scope:SCOPE_DEV
	s_and_b32 exec_lo, exec_lo, vcc_lo
	s_cbranch_execz .LBB2_80
; %bb.79:
	v_add_co_u32 v0, vcc_lo, s12, v1
	s_wait_alu 0xfffd
	v_add_co_ci_u32_e64 v1, null, s13, v2, vcc_lo
	v_mov_b32_e32 v2, 1
	s_wait_loadcnt 0x0
	global_store_b32 v[0:1], v2, off scope:SCOPE_DEV
.LBB2_80:
	s_endpgm
	.section	.rodata,"a",@progbits
	.p2align	6, 0x0
	.amdhsa_kernel _ZN9rocsparseL12csrilu0_hashILj256ELj32ELj2EfEEviPKiS2_PT2_S2_PiS2_S5_S5_d21rocsparse_index_base_imNS_24const_host_device_scalarIfEENS7_IdEENS7_IS3_EEb
		.amdhsa_group_segment_fixed_size 4096
		.amdhsa_private_segment_fixed_size 0
		.amdhsa_kernarg_size 124
		.amdhsa_user_sgpr_count 2
		.amdhsa_user_sgpr_dispatch_ptr 0
		.amdhsa_user_sgpr_queue_ptr 0
		.amdhsa_user_sgpr_kernarg_segment_ptr 1
		.amdhsa_user_sgpr_dispatch_id 0
		.amdhsa_user_sgpr_private_segment_size 0
		.amdhsa_wavefront_size32 1
		.amdhsa_uses_dynamic_stack 0
		.amdhsa_enable_private_segment 0
		.amdhsa_system_sgpr_workgroup_id_x 1
		.amdhsa_system_sgpr_workgroup_id_y 0
		.amdhsa_system_sgpr_workgroup_id_z 0
		.amdhsa_system_sgpr_workgroup_info 0
		.amdhsa_system_vgpr_workitem_id 0
		.amdhsa_next_free_vgpr 22
		.amdhsa_next_free_sgpr 42
		.amdhsa_reserve_vcc 1
		.amdhsa_float_round_mode_32 0
		.amdhsa_float_round_mode_16_64 0
		.amdhsa_float_denorm_mode_32 3
		.amdhsa_float_denorm_mode_16_64 3
		.amdhsa_fp16_overflow 0
		.amdhsa_workgroup_processor_mode 1
		.amdhsa_memory_ordered 1
		.amdhsa_forward_progress 1
		.amdhsa_inst_pref_size 25
		.amdhsa_round_robin_scheduling 0
		.amdhsa_exception_fp_ieee_invalid_op 0
		.amdhsa_exception_fp_denorm_src 0
		.amdhsa_exception_fp_ieee_div_zero 0
		.amdhsa_exception_fp_ieee_overflow 0
		.amdhsa_exception_fp_ieee_underflow 0
		.amdhsa_exception_fp_ieee_inexact 0
		.amdhsa_exception_int_div_zero 0
	.end_amdhsa_kernel
	.section	.text._ZN9rocsparseL12csrilu0_hashILj256ELj32ELj2EfEEviPKiS2_PT2_S2_PiS2_S5_S5_d21rocsparse_index_base_imNS_24const_host_device_scalarIfEENS7_IdEENS7_IS3_EEb,"axG",@progbits,_ZN9rocsparseL12csrilu0_hashILj256ELj32ELj2EfEEviPKiS2_PT2_S2_PiS2_S5_S5_d21rocsparse_index_base_imNS_24const_host_device_scalarIfEENS7_IdEENS7_IS3_EEb,comdat
.Lfunc_end2:
	.size	_ZN9rocsparseL12csrilu0_hashILj256ELj32ELj2EfEEviPKiS2_PT2_S2_PiS2_S5_S5_d21rocsparse_index_base_imNS_24const_host_device_scalarIfEENS7_IdEENS7_IS3_EEb, .Lfunc_end2-_ZN9rocsparseL12csrilu0_hashILj256ELj32ELj2EfEEviPKiS2_PT2_S2_PiS2_S5_S5_d21rocsparse_index_base_imNS_24const_host_device_scalarIfEENS7_IdEENS7_IS3_EEb
                                        ; -- End function
	.set _ZN9rocsparseL12csrilu0_hashILj256ELj32ELj2EfEEviPKiS2_PT2_S2_PiS2_S5_S5_d21rocsparse_index_base_imNS_24const_host_device_scalarIfEENS7_IdEENS7_IS3_EEb.num_vgpr, 22
	.set _ZN9rocsparseL12csrilu0_hashILj256ELj32ELj2EfEEviPKiS2_PT2_S2_PiS2_S5_S5_d21rocsparse_index_base_imNS_24const_host_device_scalarIfEENS7_IdEENS7_IS3_EEb.num_agpr, 0
	.set _ZN9rocsparseL12csrilu0_hashILj256ELj32ELj2EfEEviPKiS2_PT2_S2_PiS2_S5_S5_d21rocsparse_index_base_imNS_24const_host_device_scalarIfEENS7_IdEENS7_IS3_EEb.numbered_sgpr, 42
	.set _ZN9rocsparseL12csrilu0_hashILj256ELj32ELj2EfEEviPKiS2_PT2_S2_PiS2_S5_S5_d21rocsparse_index_base_imNS_24const_host_device_scalarIfEENS7_IdEENS7_IS3_EEb.num_named_barrier, 0
	.set _ZN9rocsparseL12csrilu0_hashILj256ELj32ELj2EfEEviPKiS2_PT2_S2_PiS2_S5_S5_d21rocsparse_index_base_imNS_24const_host_device_scalarIfEENS7_IdEENS7_IS3_EEb.private_seg_size, 0
	.set _ZN9rocsparseL12csrilu0_hashILj256ELj32ELj2EfEEviPKiS2_PT2_S2_PiS2_S5_S5_d21rocsparse_index_base_imNS_24const_host_device_scalarIfEENS7_IdEENS7_IS3_EEb.uses_vcc, 1
	.set _ZN9rocsparseL12csrilu0_hashILj256ELj32ELj2EfEEviPKiS2_PT2_S2_PiS2_S5_S5_d21rocsparse_index_base_imNS_24const_host_device_scalarIfEENS7_IdEENS7_IS3_EEb.uses_flat_scratch, 0
	.set _ZN9rocsparseL12csrilu0_hashILj256ELj32ELj2EfEEviPKiS2_PT2_S2_PiS2_S5_S5_d21rocsparse_index_base_imNS_24const_host_device_scalarIfEENS7_IdEENS7_IS3_EEb.has_dyn_sized_stack, 0
	.set _ZN9rocsparseL12csrilu0_hashILj256ELj32ELj2EfEEviPKiS2_PT2_S2_PiS2_S5_S5_d21rocsparse_index_base_imNS_24const_host_device_scalarIfEENS7_IdEENS7_IS3_EEb.has_recursion, 0
	.set _ZN9rocsparseL12csrilu0_hashILj256ELj32ELj2EfEEviPKiS2_PT2_S2_PiS2_S5_S5_d21rocsparse_index_base_imNS_24const_host_device_scalarIfEENS7_IdEENS7_IS3_EEb.has_indirect_call, 0
	.section	.AMDGPU.csdata,"",@progbits
; Kernel info:
; codeLenInByte = 3164
; TotalNumSgprs: 44
; NumVgprs: 22
; ScratchSize: 0
; MemoryBound: 0
; FloatMode: 240
; IeeeMode: 1
; LDSByteSize: 4096 bytes/workgroup (compile time only)
; SGPRBlocks: 0
; VGPRBlocks: 2
; NumSGPRsForWavesPerEU: 44
; NumVGPRsForWavesPerEU: 22
; Occupancy: 16
; WaveLimiterHint : 1
; COMPUTE_PGM_RSRC2:SCRATCH_EN: 0
; COMPUTE_PGM_RSRC2:USER_SGPR: 2
; COMPUTE_PGM_RSRC2:TRAP_HANDLER: 0
; COMPUTE_PGM_RSRC2:TGID_X_EN: 1
; COMPUTE_PGM_RSRC2:TGID_Y_EN: 0
; COMPUTE_PGM_RSRC2:TGID_Z_EN: 0
; COMPUTE_PGM_RSRC2:TIDIG_COMP_CNT: 0
	.section	.text._ZN9rocsparseL12csrilu0_hashILj256ELj32ELj4EfEEviPKiS2_PT2_S2_PiS2_S5_S5_d21rocsparse_index_base_imNS_24const_host_device_scalarIfEENS7_IdEENS7_IS3_EEb,"axG",@progbits,_ZN9rocsparseL12csrilu0_hashILj256ELj32ELj4EfEEviPKiS2_PT2_S2_PiS2_S5_S5_d21rocsparse_index_base_imNS_24const_host_device_scalarIfEENS7_IdEENS7_IS3_EEb,comdat
	.globl	_ZN9rocsparseL12csrilu0_hashILj256ELj32ELj4EfEEviPKiS2_PT2_S2_PiS2_S5_S5_d21rocsparse_index_base_imNS_24const_host_device_scalarIfEENS7_IdEENS7_IS3_EEb ; -- Begin function _ZN9rocsparseL12csrilu0_hashILj256ELj32ELj4EfEEviPKiS2_PT2_S2_PiS2_S5_S5_d21rocsparse_index_base_imNS_24const_host_device_scalarIfEENS7_IdEENS7_IS3_EEb
	.p2align	8
	.type	_ZN9rocsparseL12csrilu0_hashILj256ELj32ELj4EfEEviPKiS2_PT2_S2_PiS2_S5_S5_d21rocsparse_index_base_imNS_24const_host_device_scalarIfEENS7_IdEENS7_IS3_EEb,@function
_ZN9rocsparseL12csrilu0_hashILj256ELj32ELj4EfEEviPKiS2_PT2_S2_PiS2_S5_S5_d21rocsparse_index_base_imNS_24const_host_device_scalarIfEENS7_IdEENS7_IS3_EEb: ; @_ZN9rocsparseL12csrilu0_hashILj256ELj32ELj4EfEEviPKiS2_PT2_S2_PiS2_S5_S5_d21rocsparse_index_base_imNS_24const_host_device_scalarIfEENS7_IdEENS7_IS3_EEb
; %bb.0:
	s_clause 0x2
	s_load_b32 s2, s[0:1], 0x78
	s_load_b64 s[28:29], s[0:1], 0x50
	s_load_b256 s[20:27], s[0:1], 0x58
	s_wait_kmcnt 0x0
	s_bitcmp1_b32 s2, 0
	s_cselect_b32 s2, -1, 0
	s_cmp_eq_u32 s29, 0
	s_cselect_b32 s4, -1, 0
	s_cmp_lg_u32 s29, 0
	s_cselect_b32 s29, -1, 0
	s_or_b32 s6, s4, s2
	s_delay_alu instid0(SALU_CYCLE_1)
	s_xor_b32 s5, s6, -1
	s_and_b32 s2, s4, exec_lo
	s_cselect_b32 s3, 0, s25
	s_cselect_b32 s2, 0, s24
	;; [unrolled: 1-line block ×3, first 2 shown]
	s_and_b32 vcc_lo, exec_lo, s6
	s_cbranch_vccnz .LBB3_2
; %bb.1:
	s_load_b32 s30, s[22:23], 0x0
	s_mov_b64 s[2:3], s[24:25]
.LBB3_2:
	v_cndmask_b32_e64 v1, 0, 1, s5
	v_dual_mov_b32 v4, s3 :: v_dual_mov_b32 v3, s2
	s_and_not1_b32 vcc_lo, exec_lo, s5
	s_cbranch_vccnz .LBB3_4
; %bb.3:
	v_dual_mov_b32 v2, s24 :: v_dual_mov_b32 v3, s25
	flat_load_b64 v[3:4], v[2:3]
.LBB3_4:
	s_delay_alu instid0(VALU_DEP_2)
	v_cmp_ne_u32_e32 vcc_lo, 1, v1
	s_and_b32 s2, s4, exec_lo
	s_cselect_b32 s3, 0, s26
	s_mov_b32 s2, 0
	s_cbranch_vccnz .LBB3_6
; %bb.5:
	s_load_b32 s3, s[26:27], 0x0
.LBB3_6:
	v_lshrrev_b32_e32 v1, 5, v0
	v_and_b32_e32 v13, 31, v0
	s_delay_alu instid0(VALU_DEP_2) | instskip(NEXT) | instid1(VALU_DEP_2)
	v_lshlrev_b32_e32 v5, 9, v1
	v_lshlrev_b32_e32 v6, 2, v13
	s_delay_alu instid0(VALU_DEP_1)
	v_or3_b32 v5, v5, v6, 0x1000
	v_mov_b32_e32 v6, -1
	v_or_b32_e32 v2, 0xffffffe0, v13
.LBB3_7:                                ; =>This Inner Loop Header: Depth=1
	s_delay_alu instid0(VALU_DEP_1)
	v_add_nc_u32_e32 v2, 32, v2
	ds_store_b32 v5, v6
	v_add_nc_u32_e32 v5, 0x80, v5
	v_cmp_lt_u32_e32 vcc_lo, 0x5f, v2
	s_wait_alu 0xfffe
	s_or_b32 s2, vcc_lo, s2
	s_wait_alu 0xfffe
	s_and_not1_b32 exec_lo, exec_lo, s2
	s_cbranch_execnz .LBB3_7
; %bb.8:
	s_or_b32 exec_lo, exec_lo, s2
	s_load_b32 s2, s[0:1], 0x0
	s_lshl_b32 s4, ttmp9, 3
	s_wait_loadcnt_dscnt 0x0
	global_inv scope:SCOPE_SE
	s_wait_alu 0xfffe
	v_and_or_b32 v1, 0x7fffff8, s4, v1
	s_wait_kmcnt 0x0
	s_delay_alu instid0(VALU_DEP_1)
	v_cmp_gt_i32_e32 vcc_lo, s2, v1
	s_and_saveexec_b32 s2, vcc_lo
	s_cbranch_execz .LBB3_80
; %bb.9:
	s_load_b512 s[4:19], s[0:1], 0x8
	v_lshlrev_b32_e32 v1, 2, v1
	v_lshlrev_b32_e32 v0, 4, v0
	s_mov_b32 s2, exec_lo
	s_delay_alu instid0(VALU_DEP_1) | instskip(NEXT) | instid1(VALU_DEP_1)
	v_and_b32_e32 v0, 0xe00, v0
	v_or_b32_e32 v14, 0x1000, v0
	s_wait_kmcnt 0x0
	global_load_b32 v5, v1, s[14:15]
	s_wait_loadcnt 0x0
	v_ashrrev_i32_e32 v6, 31, v5
	s_delay_alu instid0(VALU_DEP_1) | instskip(NEXT) | instid1(VALU_DEP_1)
	v_lshlrev_b64_e32 v[1:2], 2, v[5:6]
	v_add_co_u32 v6, vcc_lo, s4, v1
	s_delay_alu instid0(VALU_DEP_1)
	v_add_co_ci_u32_e64 v7, null, s5, v2, vcc_lo
	v_add_co_u32 v9, vcc_lo, s10, v1
	s_wait_alu 0xfffd
	v_add_co_ci_u32_e64 v10, null, s11, v2, vcc_lo
	global_load_b64 v[7:8], v[6:7], off
	global_load_b32 v6, v[9:10], off
	s_wait_loadcnt 0x1
	v_subrev_nc_u32_e32 v7, s28, v7
	v_subrev_nc_u32_e32 v10, s28, v8
	s_delay_alu instid0(VALU_DEP_2) | instskip(NEXT) | instid1(VALU_DEP_1)
	v_add_nc_u32_e32 v8, v7, v13
	v_cmpx_lt_i32_e64 v8, v10
	s_cbranch_execz .LBB3_32
; %bb.10:
	v_mov_b32_e32 v11, -1
	s_mov_b32 s14, 0
	s_branch .LBB3_12
.LBB3_11:                               ;   in Loop: Header=BB3_12 Depth=1
	s_or_b32 exec_lo, exec_lo, s15
	v_add_nc_u32_e32 v8, 32, v8
	s_delay_alu instid0(VALU_DEP_1) | instskip(SKIP_1) | instid1(SALU_CYCLE_1)
	v_cmp_ge_i32_e32 vcc_lo, v8, v10
	s_or_b32 s14, vcc_lo, s14
	s_and_not1_b32 exec_lo, exec_lo, s14
	s_cbranch_execz .LBB3_32
.LBB3_12:                               ; =>This Loop Header: Depth=1
                                        ;     Child Loop BB3_21 Depth 2
	v_ashrrev_i32_e32 v9, 31, v8
	v_mov_b32_e32 v12, 0x80
	s_mov_b32 s15, 0
                                        ; implicit-def: $sgpr22
                                        ; implicit-def: $sgpr23
                                        ; implicit-def: $sgpr24
	s_delay_alu instid0(VALU_DEP_2) | instskip(NEXT) | instid1(VALU_DEP_1)
	v_lshlrev_b64_e32 v[15:16], 2, v[8:9]
	v_add_co_u32 v15, vcc_lo, s6, v15
	s_wait_alu 0xfffd
	s_delay_alu instid0(VALU_DEP_2)
	v_add_co_ci_u32_e64 v16, null, s7, v16, vcc_lo
	global_load_b32 v9, v[15:16], off
	s_wait_loadcnt 0x0
	v_mul_lo_u32 v16, 0x67, v9
	s_branch .LBB3_21
.LBB3_13:                               ;   in Loop: Header=BB3_21 Depth=2
	s_or_b32 exec_lo, exec_lo, s38
	s_delay_alu instid0(SALU_CYCLE_1)
	s_or_not1_b32 s36, s36, exec_lo
	s_or_not1_b32 s37, s37, exec_lo
.LBB3_14:                               ;   in Loop: Header=BB3_21 Depth=2
	s_or_b32 exec_lo, exec_lo, s35
	s_delay_alu instid0(SALU_CYCLE_1)
	s_and_b32 s36, s36, exec_lo
	s_or_not1_b32 s35, s37, exec_lo
.LBB3_15:                               ;   in Loop: Header=BB3_21 Depth=2
	s_or_b32 exec_lo, exec_lo, s34
	s_delay_alu instid0(SALU_CYCLE_1)
	s_or_not1_b32 s34, s36, exec_lo
	s_or_not1_b32 s35, s35, exec_lo
.LBB3_16:                               ;   in Loop: Header=BB3_21 Depth=2
	s_or_b32 exec_lo, exec_lo, s33
	s_delay_alu instid0(SALU_CYCLE_1)
	s_and_b32 s34, s34, exec_lo
	s_or_not1_b32 s33, s35, exec_lo
.LBB3_17:                               ;   in Loop: Header=BB3_21 Depth=2
	s_or_b32 exec_lo, exec_lo, s31
	s_delay_alu instid0(SALU_CYCLE_1)
	s_or_not1_b32 s31, s34, exec_lo
	s_or_not1_b32 s33, s33, exec_lo
.LBB3_18:                               ;   in Loop: Header=BB3_21 Depth=2
	s_or_b32 exec_lo, exec_lo, s27
	s_delay_alu instid0(SALU_CYCLE_1)
	s_and_b32 s31, s31, exec_lo
	s_or_not1_b32 s27, s33, exec_lo
.LBB3_19:                               ;   in Loop: Header=BB3_21 Depth=2
	s_or_b32 exec_lo, exec_lo, s26
	s_wait_alu 0xfffe
	s_and_not1_b32 s24, s24, exec_lo
	s_and_b32 s26, s31, exec_lo
	s_and_not1_b32 s23, s23, exec_lo
	s_and_b32 s27, s27, exec_lo
	s_wait_alu 0xfffe
	s_or_b32 s24, s24, s26
	s_or_b32 s23, s23, s27
.LBB3_20:                               ;   in Loop: Header=BB3_21 Depth=2
	s_wait_alu 0xfffe
	s_or_b32 exec_lo, exec_lo, s25
	s_delay_alu instid0(SALU_CYCLE_1)
	s_and_b32 s25, exec_lo, s23
	s_wait_alu 0xfffe
	s_or_b32 s15, s25, s15
	s_and_not1_b32 s22, s22, exec_lo
	s_and_b32 s25, s24, exec_lo
	s_wait_alu 0xfffe
	s_or_b32 s22, s22, s25
	s_and_not1_b32 exec_lo, exec_lo, s15
	s_cbranch_execz .LBB3_30
.LBB3_21:                               ;   Parent Loop BB3_12 Depth=1
                                        ; =>  This Inner Loop Header: Depth=2
	s_delay_alu instid0(VALU_DEP_1) | instskip(SKIP_3) | instid1(VALU_DEP_1)
	v_and_b32_e32 v15, 0x7f, v16
	s_or_b32 s24, s24, exec_lo
	s_or_b32 s23, s23, exec_lo
	s_mov_b32 s25, exec_lo
	v_lshl_add_u32 v17, v15, 2, v14
	ds_load_b32 v18, v17
	s_wait_dscnt 0x0
	v_cmpx_ne_u32_e64 v18, v9
	s_cbranch_execz .LBB3_20
; %bb.22:                               ;   in Loop: Header=BB3_21 Depth=2
	ds_cmpstore_rtn_b32 v17, v17, v9, v11
	s_mov_b32 s27, -1
	s_mov_b32 s31, 0
	s_mov_b32 s26, exec_lo
	s_wait_dscnt 0x0
	v_cmpx_ne_u32_e32 -1, v17
	s_cbranch_execz .LBB3_19
; %bb.23:                               ;   in Loop: Header=BB3_21 Depth=2
	v_add_nc_u32_e32 v15, 1, v16
	s_mov_b32 s33, -1
	s_mov_b32 s31, -1
	s_mov_b32 s27, exec_lo
	s_delay_alu instid0(VALU_DEP_1) | instskip(NEXT) | instid1(VALU_DEP_1)
	v_and_b32_e32 v15, 0x7f, v15
	v_lshl_add_u32 v17, v15, 2, v14
	ds_load_b32 v18, v17
	s_wait_dscnt 0x0
	v_cmpx_ne_u32_e64 v18, v9
	s_cbranch_execz .LBB3_18
; %bb.24:                               ;   in Loop: Header=BB3_21 Depth=2
	ds_cmpstore_rtn_b32 v17, v17, v9, v11
	s_mov_b32 s34, 0
	s_mov_b32 s31, exec_lo
	s_wait_dscnt 0x0
	v_cmpx_ne_u32_e32 -1, v17
	s_cbranch_execz .LBB3_17
; %bb.25:                               ;   in Loop: Header=BB3_21 Depth=2
	v_add_nc_u32_e32 v15, 2, v16
	s_mov_b32 s35, -1
	s_mov_b32 s34, -1
	s_mov_b32 s33, exec_lo
	s_delay_alu instid0(VALU_DEP_1) | instskip(NEXT) | instid1(VALU_DEP_1)
	v_and_b32_e32 v15, 0x7f, v15
	v_lshl_add_u32 v17, v15, 2, v14
	ds_load_b32 v18, v17
	s_wait_dscnt 0x0
	v_cmpx_ne_u32_e64 v18, v9
	s_cbranch_execz .LBB3_16
; %bb.26:                               ;   in Loop: Header=BB3_21 Depth=2
	ds_cmpstore_rtn_b32 v17, v17, v9, v11
	s_mov_b32 s36, 0
	s_mov_b32 s34, exec_lo
	s_wait_dscnt 0x0
	v_cmpx_ne_u32_e32 -1, v17
	s_cbranch_execz .LBB3_15
; %bb.27:                               ;   in Loop: Header=BB3_21 Depth=2
	v_add_nc_u32_e32 v15, 3, v16
	s_mov_b32 s37, -1
	s_mov_b32 s36, -1
	s_delay_alu instid0(VALU_DEP_1) | instskip(NEXT) | instid1(VALU_DEP_1)
	v_and_b32_e32 v15, 0x7f, v15
	v_lshl_add_u32 v17, v15, 2, v14
	ds_load_b32 v16, v17
	s_wait_dscnt 0x0
	v_cmp_ne_u32_e32 vcc_lo, v16, v9
                                        ; implicit-def: $vgpr16
	s_and_saveexec_b32 s35, vcc_lo
	s_cbranch_execz .LBB3_14
; %bb.28:                               ;   in Loop: Header=BB3_21 Depth=2
	ds_cmpstore_rtn_b32 v16, v17, v9, v11
	s_mov_b32 s36, 0
	s_wait_dscnt 0x0
	v_cmp_ne_u32_e32 vcc_lo, -1, v16
                                        ; implicit-def: $vgpr16
	s_and_saveexec_b32 s38, vcc_lo
	s_cbranch_execz .LBB3_13
; %bb.29:                               ;   in Loop: Header=BB3_21 Depth=2
	v_add_nc_u32_e32 v12, -4, v12
	v_add_nc_u32_e32 v16, 1, v15
	s_mov_b32 s36, exec_lo
	s_delay_alu instid0(VALU_DEP_2)
	v_cmp_eq_u32_e32 vcc_lo, 0, v12
	s_or_not1_b32 s37, vcc_lo, exec_lo
	s_branch .LBB3_13
.LBB3_30:                               ;   in Loop: Header=BB3_12 Depth=1
	s_or_b32 exec_lo, exec_lo, s15
	s_xor_b32 s15, s22, -1
	s_delay_alu instid0(SALU_CYCLE_1) | instskip(NEXT) | instid1(SALU_CYCLE_1)
	s_and_saveexec_b32 s22, s15
	s_xor_b32 s15, exec_lo, s22
	s_cbranch_execz .LBB3_11
; %bb.31:                               ;   in Loop: Header=BB3_12 Depth=1
	v_lshl_add_u32 v9, v15, 2, v0
	ds_store_b32 v9, v8
	s_branch .LBB3_11
.LBB3_32:
	s_wait_alu 0xfffe
	s_or_b32 exec_lo, exec_lo, s2
	s_delay_alu instid0(SALU_CYCLE_1)
	s_mov_b32 s2, exec_lo
	s_wait_loadcnt_dscnt 0x0
	global_inv scope:SCOPE_SE
	v_cmpx_lt_i32_e64 v7, v6
	s_cbranch_execz .LBB3_62
; %bb.33:
	v_add_nc_u32_e32 v15, 1, v13
	s_mov_b32 s14, 0
	s_branch .LBB3_36
.LBB3_34:                               ;   in Loop: Header=BB3_36 Depth=1
	s_or_b32 exec_lo, exec_lo, s22
	v_add_nc_u32_e32 v7, 1, v7
	s_delay_alu instid0(VALU_DEP_1)
	v_cmp_ge_i32_e32 vcc_lo, v7, v6
	s_or_not1_b32 s22, vcc_lo, exec_lo
.LBB3_35:                               ;   in Loop: Header=BB3_36 Depth=1
	s_or_b32 exec_lo, exec_lo, s15
	s_delay_alu instid0(SALU_CYCLE_1) | instskip(NEXT) | instid1(SALU_CYCLE_1)
	s_and_b32 s15, exec_lo, s22
	s_or_b32 s14, s15, s14
	s_delay_alu instid0(SALU_CYCLE_1)
	s_and_not1_b32 exec_lo, exec_lo, s14
	s_cbranch_execz .LBB3_62
.LBB3_36:                               ; =>This Loop Header: Depth=1
                                        ;     Child Loop BB3_37 Depth 2
                                        ;     Child Loop BB3_42 Depth 2
                                        ;       Child Loop BB3_51 Depth 3
	v_ashrrev_i32_e32 v8, 31, v7
	s_mov_b32 s15, 0
	s_delay_alu instid0(VALU_DEP_1) | instskip(NEXT) | instid1(VALU_DEP_1)
	v_lshlrev_b64_e32 v[9:10], 2, v[7:8]
	v_add_co_u32 v11, vcc_lo, s6, v9
	s_wait_alu 0xfffd
	s_delay_alu instid0(VALU_DEP_2)
	v_add_co_ci_u32_e64 v12, null, s7, v10, vcc_lo
	v_add_co_u32 v9, vcc_lo, s8, v9
	s_wait_alu 0xfffd
	v_add_co_ci_u32_e64 v10, null, s9, v10, vcc_lo
	global_load_b32 v8, v[11:12], off
	s_wait_loadcnt 0x0
	v_subrev_nc_u32_e32 v11, s28, v8
	s_delay_alu instid0(VALU_DEP_1) | instskip(NEXT) | instid1(VALU_DEP_1)
	v_ashrrev_i32_e32 v12, 31, v11
	v_lshlrev_b64_e32 v[11:12], 2, v[11:12]
	s_delay_alu instid0(VALU_DEP_1) | instskip(SKIP_1) | instid1(VALU_DEP_2)
	v_add_co_u32 v18, vcc_lo, s4, v11
	s_wait_alu 0xfffd
	v_add_co_ci_u32_e64 v19, null, s5, v12, vcc_lo
	v_add_co_u32 v20, vcc_lo, s10, v11
	s_wait_alu 0xfffd
	v_add_co_ci_u32_e64 v21, null, s11, v12, vcc_lo
	global_load_b32 v17, v[9:10], off
	global_load_b32 v8, v[18:19], off offset:4
	global_load_b32 v18, v[20:21], off
	v_add_co_u32 v11, vcc_lo, s12, v11
	s_wait_alu 0xfffd
	v_add_co_ci_u32_e64 v12, null, s13, v12, vcc_lo
.LBB3_37:                               ;   Parent Loop BB3_36 Depth=1
                                        ; =>  This Inner Loop Header: Depth=2
	global_load_b32 v16, v[11:12], off scope:SCOPE_DEV
	s_wait_loadcnt 0x0
	v_cmp_ne_u32_e32 vcc_lo, 0, v16
	s_or_b32 s15, vcc_lo, s15
	s_delay_alu instid0(SALU_CYCLE_1)
	s_and_not1_b32 exec_lo, exec_lo, s15
	s_cbranch_execnz .LBB3_37
; %bb.38:                               ;   in Loop: Header=BB3_36 Depth=1
	s_or_b32 exec_lo, exec_lo, s15
	v_subrev_nc_u32_e32 v16, s28, v8
	v_cmp_eq_u32_e32 vcc_lo, -1, v18
	global_inv scope:SCOPE_DEV
	s_mov_b32 s22, -1
	s_mov_b32 s15, exec_lo
	v_add_nc_u32_e32 v8, -1, v16
	s_wait_alu 0xfffd
	s_delay_alu instid0(VALU_DEP_1) | instskip(NEXT) | instid1(VALU_DEP_1)
	v_cndmask_b32_e32 v11, v18, v8, vcc_lo
	v_ashrrev_i32_e32 v12, 31, v11
	s_delay_alu instid0(VALU_DEP_1) | instskip(NEXT) | instid1(VALU_DEP_1)
	v_lshlrev_b64_e32 v[18:19], 2, v[11:12]
	v_add_co_u32 v18, vcc_lo, s8, v18
	s_wait_alu 0xfffd
	s_delay_alu instid0(VALU_DEP_2)
	v_add_co_ci_u32_e64 v19, null, s9, v19, vcc_lo
	global_load_b32 v12, v[18:19], off
	s_wait_loadcnt 0x0
	v_cmpx_neq_f32_e32 0, v12
	s_cbranch_execz .LBB3_35
; %bb.39:                               ;   in Loop: Header=BB3_36 Depth=1
	v_div_scale_f32 v8, null, v12, v12, v17
	s_mov_b32 s22, exec_lo
	v_rcp_f32_e32 v18, v8
	s_delay_alu instid0(TRANS32_DEP_1) | instskip(NEXT) | instid1(VALU_DEP_1)
	v_fma_f32 v19, -v8, v18, 1.0
	v_fmac_f32_e32 v18, v19, v18
	v_div_scale_f32 v19, vcc_lo, v17, v12, v17
	s_delay_alu instid0(VALU_DEP_1) | instskip(NEXT) | instid1(VALU_DEP_1)
	v_mul_f32_e32 v20, v19, v18
	v_fma_f32 v21, -v8, v20, v19
	s_delay_alu instid0(VALU_DEP_1) | instskip(NEXT) | instid1(VALU_DEP_1)
	v_fmac_f32_e32 v20, v21, v18
	v_fma_f32 v8, -v8, v20, v19
	s_wait_alu 0xfffd
	s_delay_alu instid0(VALU_DEP_1) | instskip(SKIP_1) | instid1(VALU_DEP_2)
	v_div_fmas_f32 v18, v8, v18, v20
	v_add_nc_u32_e32 v8, v15, v11
	v_div_fixup_f32 v11, v18, v12, v17
	global_store_b32 v[9:10], v11, off
	v_cmpx_lt_i32_e64 v8, v16
	s_cbranch_execz .LBB3_34
; %bb.40:                               ;   in Loop: Header=BB3_36 Depth=1
	s_mov_b32 s23, 0
	s_branch .LBB3_42
.LBB3_41:                               ;   in Loop: Header=BB3_42 Depth=2
	s_wait_alu 0xfffe
	s_or_b32 exec_lo, exec_lo, s24
	v_add_nc_u32_e32 v8, 32, v8
	s_delay_alu instid0(VALU_DEP_1) | instskip(SKIP_1) | instid1(SALU_CYCLE_1)
	v_cmp_ge_i32_e32 vcc_lo, v8, v16
	s_or_b32 s23, vcc_lo, s23
	s_and_not1_b32 exec_lo, exec_lo, s23
	s_cbranch_execz .LBB3_34
.LBB3_42:                               ;   Parent Loop BB3_36 Depth=1
                                        ; =>  This Loop Header: Depth=2
                                        ;       Child Loop BB3_51 Depth 3
	v_ashrrev_i32_e32 v9, 31, v8
	s_mov_b32 s24, 0
                                        ; implicit-def: $sgpr25
                                        ; implicit-def: $sgpr26
                                        ; implicit-def: $sgpr27
	s_delay_alu instid0(VALU_DEP_1) | instskip(NEXT) | instid1(VALU_DEP_1)
	v_lshlrev_b64_e32 v[9:10], 2, v[8:9]
	v_add_co_u32 v17, vcc_lo, s6, v9
	s_wait_alu 0xfffd
	s_delay_alu instid0(VALU_DEP_2)
	v_add_co_ci_u32_e64 v18, null, s7, v10, vcc_lo
	global_load_b32 v12, v[17:18], off
	v_mov_b32_e32 v17, 0x80
	s_wait_loadcnt 0x0
	v_mul_lo_u32 v19, 0x67, v12
	s_branch .LBB3_51
.LBB3_43:                               ;   in Loop: Header=BB3_51 Depth=3
	s_or_b32 exec_lo, exec_lo, s41
	s_delay_alu instid0(SALU_CYCLE_1)
	s_or_not1_b32 s39, s39, exec_lo
	s_or_not1_b32 s40, s40, exec_lo
.LBB3_44:                               ;   in Loop: Header=BB3_51 Depth=3
	s_or_b32 exec_lo, exec_lo, s38
	s_delay_alu instid0(SALU_CYCLE_1)
	s_and_b32 s39, s39, exec_lo
	s_or_not1_b32 s38, s40, exec_lo
.LBB3_45:                               ;   in Loop: Header=BB3_51 Depth=3
	s_or_b32 exec_lo, exec_lo, s37
	s_delay_alu instid0(SALU_CYCLE_1)
	s_or_not1_b32 s37, s39, exec_lo
	s_or_not1_b32 s38, s38, exec_lo
.LBB3_46:                               ;   in Loop: Header=BB3_51 Depth=3
	s_or_b32 exec_lo, exec_lo, s36
	s_delay_alu instid0(SALU_CYCLE_1)
	s_and_b32 s37, s37, exec_lo
	s_or_not1_b32 s36, s38, exec_lo
.LBB3_47:                               ;   in Loop: Header=BB3_51 Depth=3
	s_or_b32 exec_lo, exec_lo, s35
	s_delay_alu instid0(SALU_CYCLE_1)
	s_or_not1_b32 s35, s37, exec_lo
	s_or_not1_b32 s36, s36, exec_lo
.LBB3_48:                               ;   in Loop: Header=BB3_51 Depth=3
	s_or_b32 exec_lo, exec_lo, s34
	s_delay_alu instid0(SALU_CYCLE_1)
	s_and_b32 s35, s35, exec_lo
	s_or_not1_b32 s34, s36, exec_lo
.LBB3_49:                               ;   in Loop: Header=BB3_51 Depth=3
	s_or_b32 exec_lo, exec_lo, s33
	s_delay_alu instid0(SALU_CYCLE_1)
	s_and_not1_b32 s27, s27, exec_lo
	s_and_b32 s33, s35, exec_lo
	s_and_not1_b32 s26, s26, exec_lo
	s_and_b32 s34, s34, exec_lo
	s_or_b32 s27, s27, s33
	s_or_b32 s26, s26, s34
.LBB3_50:                               ;   in Loop: Header=BB3_51 Depth=3
	s_or_b32 exec_lo, exec_lo, s31
	s_delay_alu instid0(SALU_CYCLE_1)
	s_and_b32 s31, exec_lo, s26
	s_wait_alu 0xfffe
	s_or_b32 s24, s31, s24
	s_and_not1_b32 s25, s25, exec_lo
	s_and_b32 s31, s27, exec_lo
	s_wait_alu 0xfffe
	s_or_b32 s25, s25, s31
	s_and_not1_b32 exec_lo, exec_lo, s24
	s_cbranch_execz .LBB3_60
.LBB3_51:                               ;   Parent Loop BB3_36 Depth=1
                                        ;     Parent Loop BB3_42 Depth=2
                                        ; =>    This Inner Loop Header: Depth=3
	s_delay_alu instid0(VALU_DEP_1) | instskip(SKIP_3) | instid1(VALU_DEP_1)
	v_and_b32_e32 v18, 0x7f, v19
	s_or_b32 s27, s27, exec_lo
	s_or_b32 s26, s26, exec_lo
	s_mov_b32 s31, exec_lo
	v_lshl_add_u32 v20, v18, 2, v14
	ds_load_b32 v20, v20
	s_wait_dscnt 0x0
	v_cmpx_ne_u32_e32 -1, v20
	s_cbranch_execz .LBB3_50
; %bb.52:                               ;   in Loop: Header=BB3_51 Depth=3
	s_mov_b32 s34, -1
	s_mov_b32 s35, 0
	s_mov_b32 s33, exec_lo
	v_cmpx_ne_u32_e64 v20, v12
	s_cbranch_execz .LBB3_49
; %bb.53:                               ;   in Loop: Header=BB3_51 Depth=3
	v_add_nc_u32_e32 v18, 1, v19
	s_mov_b32 s36, -1
	s_mov_b32 s35, -1
	s_mov_b32 s34, exec_lo
	s_delay_alu instid0(VALU_DEP_1) | instskip(NEXT) | instid1(VALU_DEP_1)
	v_and_b32_e32 v18, 0x7f, v18
	v_lshl_add_u32 v20, v18, 2, v14
	ds_load_b32 v20, v20
	s_wait_dscnt 0x0
	v_cmpx_ne_u32_e32 -1, v20
	s_cbranch_execz .LBB3_48
; %bb.54:                               ;   in Loop: Header=BB3_51 Depth=3
	s_mov_b32 s37, 0
	s_mov_b32 s35, exec_lo
	v_cmpx_ne_u32_e64 v20, v12
	s_cbranch_execz .LBB3_47
; %bb.55:                               ;   in Loop: Header=BB3_51 Depth=3
	v_add_nc_u32_e32 v18, 2, v19
	s_mov_b32 s38, -1
	s_mov_b32 s37, -1
	s_mov_b32 s36, exec_lo
	s_delay_alu instid0(VALU_DEP_1) | instskip(NEXT) | instid1(VALU_DEP_1)
	v_and_b32_e32 v18, 0x7f, v18
	v_lshl_add_u32 v20, v18, 2, v14
	ds_load_b32 v20, v20
	s_wait_dscnt 0x0
	v_cmpx_ne_u32_e32 -1, v20
	s_cbranch_execz .LBB3_46
; %bb.56:                               ;   in Loop: Header=BB3_51 Depth=3
	s_mov_b32 s39, 0
	s_mov_b32 s37, exec_lo
	v_cmpx_ne_u32_e64 v20, v12
	s_cbranch_execz .LBB3_45
; %bb.57:                               ;   in Loop: Header=BB3_51 Depth=3
	v_add_nc_u32_e32 v18, 3, v19
	s_mov_b32 s40, -1
	s_mov_b32 s39, -1
	s_mov_b32 s38, exec_lo
	s_delay_alu instid0(VALU_DEP_1) | instskip(NEXT) | instid1(VALU_DEP_1)
	v_and_b32_e32 v18, 0x7f, v18
	v_lshl_add_u32 v19, v18, 2, v14
	ds_load_b32 v20, v19
                                        ; implicit-def: $vgpr19
	s_wait_dscnt 0x0
	v_cmpx_ne_u32_e32 -1, v20
	s_cbranch_execz .LBB3_44
; %bb.58:                               ;   in Loop: Header=BB3_51 Depth=3
	s_mov_b32 s39, 0
	s_mov_b32 s41, exec_lo
                                        ; implicit-def: $vgpr19
	v_cmpx_ne_u32_e64 v20, v12
	s_cbranch_execz .LBB3_43
; %bb.59:                               ;   in Loop: Header=BB3_51 Depth=3
	v_add_nc_u32_e32 v17, -4, v17
	v_add_nc_u32_e32 v19, 1, v18
	s_mov_b32 s39, exec_lo
	s_delay_alu instid0(VALU_DEP_2)
	v_cmp_eq_u32_e32 vcc_lo, 0, v17
	s_or_not1_b32 s40, vcc_lo, exec_lo
	s_branch .LBB3_43
.LBB3_60:                               ;   in Loop: Header=BB3_42 Depth=2
	s_or_b32 exec_lo, exec_lo, s24
	s_wait_alu 0xfffe
	s_xor_b32 s24, s25, -1
	s_wait_alu 0xfffe
	s_and_saveexec_b32 s25, s24
	s_wait_alu 0xfffe
	s_xor_b32 s24, exec_lo, s25
	s_cbranch_execz .LBB3_41
; %bb.61:                               ;   in Loop: Header=BB3_42 Depth=2
	v_lshl_add_u32 v12, v18, 2, v0
	v_add_co_u32 v9, vcc_lo, s8, v9
	s_wait_alu 0xfffd
	v_add_co_ci_u32_e64 v10, null, s9, v10, vcc_lo
	ds_load_b32 v17, v12
	s_wait_dscnt 0x0
	v_ashrrev_i32_e32 v18, 31, v17
	s_delay_alu instid0(VALU_DEP_1) | instskip(NEXT) | instid1(VALU_DEP_1)
	v_lshlrev_b64_e32 v[17:18], 2, v[17:18]
	v_add_co_u32 v17, vcc_lo, s8, v17
	s_wait_alu 0xfffd
	s_delay_alu instid0(VALU_DEP_2)
	v_add_co_ci_u32_e64 v18, null, s9, v18, vcc_lo
	s_clause 0x1
	global_load_b32 v9, v[9:10], off
	global_load_b32 v10, v[17:18], off
	s_wait_loadcnt 0x0
	v_fma_f32 v9, -v11, v9, v10
	global_store_b32 v[17:18], v9, off
	s_branch .LBB3_41
.LBB3_62:
	s_wait_alu 0xfffe
	s_or_b32 exec_lo, exec_lo, s2
	s_mov_b32 s5, -1
	s_mov_b32 s4, exec_lo
	s_wait_loadcnt 0x0
	s_wait_storecnt 0x0
	global_inv scope:SCOPE_SE
	v_cmpx_lt_i32_e32 -1, v6
	s_cbranch_execz .LBB3_78
; %bb.63:
	v_mov_b32_e32 v7, 0
	v_cmp_eq_u32_e64 s2, 0, v13
	s_delay_alu instid0(VALU_DEP_2) | instskip(NEXT) | instid1(VALU_DEP_1)
	v_lshlrev_b64_e32 v[6:7], 2, v[6:7]
	v_add_co_u32 v8, vcc_lo, s8, v6
	s_wait_alu 0xfffd
	s_delay_alu instid0(VALU_DEP_2)
	v_add_co_ci_u32_e64 v9, null, s9, v7, vcc_lo
	global_load_b32 v0, v[8:9], off
	s_wait_loadcnt 0x0
	v_cmp_gt_f32_e32 vcc_lo, 0, v0
	s_wait_alu 0xfffd
	v_cndmask_b32_e64 v6, v0, -v0, vcc_lo
	s_and_not1_b32 vcc_lo, exec_lo, s29
	s_delay_alu instid0(VALU_DEP_1)
	v_cvt_f64_f32_e32 v[6:7], v6
	s_wait_alu 0xfffe
	s_cbranch_vccnz .LBB3_67
; %bb.64:
	v_cvt_f64_f32_e32 v[10:11], s30
	s_cmp_eq_u64 s[20:21], 8
	s_cselect_b32 vcc_lo, -1, 0
	s_wait_alu 0xfffe
	s_delay_alu instid0(VALU_DEP_1) | instskip(NEXT) | instid1(VALU_DEP_1)
	v_dual_cndmask_b32 v4, v11, v4 :: v_dual_cndmask_b32 v3, v10, v3
	v_cmp_ge_f64_e32 vcc_lo, v[3:4], v[6:7]
	s_and_b32 s6, s2, vcc_lo
	s_wait_alu 0xfffe
	s_and_saveexec_b32 s5, s6
	s_cbranch_execz .LBB3_66
; %bb.65:
	v_mov_b32_e32 v3, s3
	global_store_b32 v[8:9], v3, off
	s_wait_storecnt 0x0
	global_inv scope:SCOPE_DEV
.LBB3_66:
	s_wait_alu 0xfffe
	s_or_b32 exec_lo, exec_lo, s5
	s_mov_b32 s5, 0
.LBB3_67:
	s_wait_alu 0xfffe
	s_and_not1_b32 vcc_lo, exec_lo, s5
	s_wait_alu 0xfffe
	s_cbranch_vccnz .LBB3_78
; %bb.68:
	s_load_b64 s[0:1], s[0:1], 0x48
	v_add_nc_u32_e32 v3, s28, v5
	s_wait_kmcnt 0x0
	s_delay_alu instid0(VALU_DEP_2)
	v_cmp_ge_f64_e32 vcc_lo, s[0:1], v[6:7]
	s_and_b32 s1, s2, vcc_lo
	s_wait_alu 0xfffe
	s_and_saveexec_b32 s0, s1
	s_cbranch_execz .LBB3_73
; %bb.69:
	s_mov_b32 s3, exec_lo
	s_brev_b32 s1, -2
.LBB3_70:                               ; =>This Inner Loop Header: Depth=1
	s_wait_alu 0xfffe
	s_ctz_i32_b32 s5, s3
	s_wait_alu 0xfffe
	v_readlane_b32 s6, v3, s5
	s_lshl_b32 s5, 1, s5
	s_wait_alu 0xfffe
	s_and_not1_b32 s3, s3, s5
	s_min_i32 s1, s1, s6
	s_wait_alu 0xfffe
	s_cmp_lg_u32 s3, 0
	s_cbranch_scc1 .LBB3_70
; %bb.71:
	v_mbcnt_lo_u32_b32 v4, exec_lo, 0
	s_mov_b32 s3, exec_lo
	s_delay_alu instid0(VALU_DEP_1)
	v_cmpx_eq_u32_e32 0, v4
	s_wait_alu 0xfffe
	s_xor_b32 s3, exec_lo, s3
	s_cbranch_execz .LBB3_73
; %bb.72:
	v_dual_mov_b32 v4, 0 :: v_dual_mov_b32 v5, s1
	global_atomic_min_i32 v4, v5, s[18:19] scope:SCOPE_DEV
.LBB3_73:
	s_wait_alu 0xfffe
	s_or_b32 exec_lo, exec_lo, s0
	v_cmp_eq_f32_e32 vcc_lo, 0, v0
	s_and_b32 s0, s2, vcc_lo
	s_wait_alu 0xfffe
	s_and_b32 exec_lo, exec_lo, s0
	s_cbranch_execz .LBB3_78
; %bb.74:
	s_mov_b32 s1, exec_lo
	s_brev_b32 s0, -2
.LBB3_75:                               ; =>This Inner Loop Header: Depth=1
	s_wait_alu 0xfffe
	s_ctz_i32_b32 s2, s1
	s_wait_alu 0xfffe
	v_readlane_b32 s3, v3, s2
	s_lshl_b32 s2, 1, s2
	s_wait_alu 0xfffe
	s_and_not1_b32 s1, s1, s2
	s_min_i32 s0, s0, s3
	s_wait_alu 0xfffe
	s_cmp_lg_u32 s1, 0
	s_cbranch_scc1 .LBB3_75
; %bb.76:
	v_mbcnt_lo_u32_b32 v0, exec_lo, 0
	s_mov_b32 s1, exec_lo
	s_delay_alu instid0(VALU_DEP_1)
	v_cmpx_eq_u32_e32 0, v0
	s_wait_alu 0xfffe
	s_xor_b32 s1, exec_lo, s1
	s_cbranch_execz .LBB3_78
; %bb.77:
	v_dual_mov_b32 v0, 0 :: v_dual_mov_b32 v3, s0
	global_atomic_min_i32 v0, v3, s[16:17] scope:SCOPE_DEV
.LBB3_78:
	s_wait_alu 0xfffe
	s_or_b32 exec_lo, exec_lo, s4
	v_cmp_eq_u32_e32 vcc_lo, 0, v13
	s_wait_loadcnt 0x0
	s_wait_storecnt 0x0
	global_inv scope:SCOPE_DEV
	s_and_b32 exec_lo, exec_lo, vcc_lo
	s_cbranch_execz .LBB3_80
; %bb.79:
	v_add_co_u32 v0, vcc_lo, s12, v1
	s_wait_alu 0xfffd
	v_add_co_ci_u32_e64 v1, null, s13, v2, vcc_lo
	v_mov_b32_e32 v2, 1
	s_wait_loadcnt 0x0
	global_store_b32 v[0:1], v2, off scope:SCOPE_DEV
.LBB3_80:
	s_endpgm
	.section	.rodata,"a",@progbits
	.p2align	6, 0x0
	.amdhsa_kernel _ZN9rocsparseL12csrilu0_hashILj256ELj32ELj4EfEEviPKiS2_PT2_S2_PiS2_S5_S5_d21rocsparse_index_base_imNS_24const_host_device_scalarIfEENS7_IdEENS7_IS3_EEb
		.amdhsa_group_segment_fixed_size 8192
		.amdhsa_private_segment_fixed_size 0
		.amdhsa_kernarg_size 124
		.amdhsa_user_sgpr_count 2
		.amdhsa_user_sgpr_dispatch_ptr 0
		.amdhsa_user_sgpr_queue_ptr 0
		.amdhsa_user_sgpr_kernarg_segment_ptr 1
		.amdhsa_user_sgpr_dispatch_id 0
		.amdhsa_user_sgpr_private_segment_size 0
		.amdhsa_wavefront_size32 1
		.amdhsa_uses_dynamic_stack 0
		.amdhsa_enable_private_segment 0
		.amdhsa_system_sgpr_workgroup_id_x 1
		.amdhsa_system_sgpr_workgroup_id_y 0
		.amdhsa_system_sgpr_workgroup_id_z 0
		.amdhsa_system_sgpr_workgroup_info 0
		.amdhsa_system_vgpr_workitem_id 0
		.amdhsa_next_free_vgpr 22
		.amdhsa_next_free_sgpr 42
		.amdhsa_reserve_vcc 1
		.amdhsa_float_round_mode_32 0
		.amdhsa_float_round_mode_16_64 0
		.amdhsa_float_denorm_mode_32 3
		.amdhsa_float_denorm_mode_16_64 3
		.amdhsa_fp16_overflow 0
		.amdhsa_workgroup_processor_mode 1
		.amdhsa_memory_ordered 1
		.amdhsa_forward_progress 1
		.amdhsa_inst_pref_size 26
		.amdhsa_round_robin_scheduling 0
		.amdhsa_exception_fp_ieee_invalid_op 0
		.amdhsa_exception_fp_denorm_src 0
		.amdhsa_exception_fp_ieee_div_zero 0
		.amdhsa_exception_fp_ieee_overflow 0
		.amdhsa_exception_fp_ieee_underflow 0
		.amdhsa_exception_fp_ieee_inexact 0
		.amdhsa_exception_int_div_zero 0
	.end_amdhsa_kernel
	.section	.text._ZN9rocsparseL12csrilu0_hashILj256ELj32ELj4EfEEviPKiS2_PT2_S2_PiS2_S5_S5_d21rocsparse_index_base_imNS_24const_host_device_scalarIfEENS7_IdEENS7_IS3_EEb,"axG",@progbits,_ZN9rocsparseL12csrilu0_hashILj256ELj32ELj4EfEEviPKiS2_PT2_S2_PiS2_S5_S5_d21rocsparse_index_base_imNS_24const_host_device_scalarIfEENS7_IdEENS7_IS3_EEb,comdat
.Lfunc_end3:
	.size	_ZN9rocsparseL12csrilu0_hashILj256ELj32ELj4EfEEviPKiS2_PT2_S2_PiS2_S5_S5_d21rocsparse_index_base_imNS_24const_host_device_scalarIfEENS7_IdEENS7_IS3_EEb, .Lfunc_end3-_ZN9rocsparseL12csrilu0_hashILj256ELj32ELj4EfEEviPKiS2_PT2_S2_PiS2_S5_S5_d21rocsparse_index_base_imNS_24const_host_device_scalarIfEENS7_IdEENS7_IS3_EEb
                                        ; -- End function
	.set _ZN9rocsparseL12csrilu0_hashILj256ELj32ELj4EfEEviPKiS2_PT2_S2_PiS2_S5_S5_d21rocsparse_index_base_imNS_24const_host_device_scalarIfEENS7_IdEENS7_IS3_EEb.num_vgpr, 22
	.set _ZN9rocsparseL12csrilu0_hashILj256ELj32ELj4EfEEviPKiS2_PT2_S2_PiS2_S5_S5_d21rocsparse_index_base_imNS_24const_host_device_scalarIfEENS7_IdEENS7_IS3_EEb.num_agpr, 0
	.set _ZN9rocsparseL12csrilu0_hashILj256ELj32ELj4EfEEviPKiS2_PT2_S2_PiS2_S5_S5_d21rocsparse_index_base_imNS_24const_host_device_scalarIfEENS7_IdEENS7_IS3_EEb.numbered_sgpr, 42
	.set _ZN9rocsparseL12csrilu0_hashILj256ELj32ELj4EfEEviPKiS2_PT2_S2_PiS2_S5_S5_d21rocsparse_index_base_imNS_24const_host_device_scalarIfEENS7_IdEENS7_IS3_EEb.num_named_barrier, 0
	.set _ZN9rocsparseL12csrilu0_hashILj256ELj32ELj4EfEEviPKiS2_PT2_S2_PiS2_S5_S5_d21rocsparse_index_base_imNS_24const_host_device_scalarIfEENS7_IdEENS7_IS3_EEb.private_seg_size, 0
	.set _ZN9rocsparseL12csrilu0_hashILj256ELj32ELj4EfEEviPKiS2_PT2_S2_PiS2_S5_S5_d21rocsparse_index_base_imNS_24const_host_device_scalarIfEENS7_IdEENS7_IS3_EEb.uses_vcc, 1
	.set _ZN9rocsparseL12csrilu0_hashILj256ELj32ELj4EfEEviPKiS2_PT2_S2_PiS2_S5_S5_d21rocsparse_index_base_imNS_24const_host_device_scalarIfEENS7_IdEENS7_IS3_EEb.uses_flat_scratch, 0
	.set _ZN9rocsparseL12csrilu0_hashILj256ELj32ELj4EfEEviPKiS2_PT2_S2_PiS2_S5_S5_d21rocsparse_index_base_imNS_24const_host_device_scalarIfEENS7_IdEENS7_IS3_EEb.has_dyn_sized_stack, 0
	.set _ZN9rocsparseL12csrilu0_hashILj256ELj32ELj4EfEEviPKiS2_PT2_S2_PiS2_S5_S5_d21rocsparse_index_base_imNS_24const_host_device_scalarIfEENS7_IdEENS7_IS3_EEb.has_recursion, 0
	.set _ZN9rocsparseL12csrilu0_hashILj256ELj32ELj4EfEEviPKiS2_PT2_S2_PiS2_S5_S5_d21rocsparse_index_base_imNS_24const_host_device_scalarIfEENS7_IdEENS7_IS3_EEb.has_indirect_call, 0
	.section	.AMDGPU.csdata,"",@progbits
; Kernel info:
; codeLenInByte = 3204
; TotalNumSgprs: 44
; NumVgprs: 22
; ScratchSize: 0
; MemoryBound: 0
; FloatMode: 240
; IeeeMode: 1
; LDSByteSize: 8192 bytes/workgroup (compile time only)
; SGPRBlocks: 0
; VGPRBlocks: 2
; NumSGPRsForWavesPerEU: 44
; NumVGPRsForWavesPerEU: 22
; Occupancy: 16
; WaveLimiterHint : 1
; COMPUTE_PGM_RSRC2:SCRATCH_EN: 0
; COMPUTE_PGM_RSRC2:USER_SGPR: 2
; COMPUTE_PGM_RSRC2:TRAP_HANDLER: 0
; COMPUTE_PGM_RSRC2:TGID_X_EN: 1
; COMPUTE_PGM_RSRC2:TGID_Y_EN: 0
; COMPUTE_PGM_RSRC2:TGID_Z_EN: 0
; COMPUTE_PGM_RSRC2:TIDIG_COMP_CNT: 0
	.section	.text._ZN9rocsparseL12csrilu0_hashILj256ELj32ELj8EfEEviPKiS2_PT2_S2_PiS2_S5_S5_d21rocsparse_index_base_imNS_24const_host_device_scalarIfEENS7_IdEENS7_IS3_EEb,"axG",@progbits,_ZN9rocsparseL12csrilu0_hashILj256ELj32ELj8EfEEviPKiS2_PT2_S2_PiS2_S5_S5_d21rocsparse_index_base_imNS_24const_host_device_scalarIfEENS7_IdEENS7_IS3_EEb,comdat
	.globl	_ZN9rocsparseL12csrilu0_hashILj256ELj32ELj8EfEEviPKiS2_PT2_S2_PiS2_S5_S5_d21rocsparse_index_base_imNS_24const_host_device_scalarIfEENS7_IdEENS7_IS3_EEb ; -- Begin function _ZN9rocsparseL12csrilu0_hashILj256ELj32ELj8EfEEviPKiS2_PT2_S2_PiS2_S5_S5_d21rocsparse_index_base_imNS_24const_host_device_scalarIfEENS7_IdEENS7_IS3_EEb
	.p2align	8
	.type	_ZN9rocsparseL12csrilu0_hashILj256ELj32ELj8EfEEviPKiS2_PT2_S2_PiS2_S5_S5_d21rocsparse_index_base_imNS_24const_host_device_scalarIfEENS7_IdEENS7_IS3_EEb,@function
_ZN9rocsparseL12csrilu0_hashILj256ELj32ELj8EfEEviPKiS2_PT2_S2_PiS2_S5_S5_d21rocsparse_index_base_imNS_24const_host_device_scalarIfEENS7_IdEENS7_IS3_EEb: ; @_ZN9rocsparseL12csrilu0_hashILj256ELj32ELj8EfEEviPKiS2_PT2_S2_PiS2_S5_S5_d21rocsparse_index_base_imNS_24const_host_device_scalarIfEENS7_IdEENS7_IS3_EEb
; %bb.0:
	s_clause 0x2
	s_load_b32 s2, s[0:1], 0x78
	s_load_b64 s[28:29], s[0:1], 0x50
	s_load_b256 s[20:27], s[0:1], 0x58
	s_wait_kmcnt 0x0
	s_bitcmp1_b32 s2, 0
	s_cselect_b32 s2, -1, 0
	s_cmp_eq_u32 s29, 0
	s_cselect_b32 s4, -1, 0
	s_cmp_lg_u32 s29, 0
	s_cselect_b32 s29, -1, 0
	s_or_b32 s6, s4, s2
	s_delay_alu instid0(SALU_CYCLE_1)
	s_xor_b32 s5, s6, -1
	s_and_b32 s2, s4, exec_lo
	s_cselect_b32 s3, 0, s25
	s_cselect_b32 s2, 0, s24
	;; [unrolled: 1-line block ×3, first 2 shown]
	s_and_b32 vcc_lo, exec_lo, s6
	s_cbranch_vccnz .LBB4_2
; %bb.1:
	s_load_b32 s30, s[22:23], 0x0
	s_mov_b64 s[2:3], s[24:25]
.LBB4_2:
	v_cndmask_b32_e64 v1, 0, 1, s5
	v_dual_mov_b32 v4, s3 :: v_dual_mov_b32 v3, s2
	s_and_not1_b32 vcc_lo, exec_lo, s5
	s_cbranch_vccnz .LBB4_4
; %bb.3:
	v_dual_mov_b32 v2, s24 :: v_dual_mov_b32 v3, s25
	flat_load_b64 v[3:4], v[2:3]
.LBB4_4:
	s_delay_alu instid0(VALU_DEP_2)
	v_cmp_ne_u32_e32 vcc_lo, 1, v1
	s_and_b32 s2, s4, exec_lo
	s_cselect_b32 s3, 0, s26
	s_mov_b32 s2, 0
	s_cbranch_vccnz .LBB4_6
; %bb.5:
	s_load_b32 s3, s[26:27], 0x0
.LBB4_6:
	v_lshrrev_b32_e32 v1, 5, v0
	v_and_b32_e32 v13, 31, v0
	s_delay_alu instid0(VALU_DEP_2) | instskip(NEXT) | instid1(VALU_DEP_2)
	v_lshlrev_b32_e32 v5, 10, v1
	v_lshlrev_b32_e32 v6, 2, v13
	s_delay_alu instid0(VALU_DEP_1)
	v_or3_b32 v5, v5, v6, 0x2000
	v_mov_b32_e32 v6, -1
	v_or_b32_e32 v2, 0xffffffe0, v13
.LBB4_7:                                ; =>This Inner Loop Header: Depth=1
	s_delay_alu instid0(VALU_DEP_1)
	v_add_nc_u32_e32 v2, 32, v2
	ds_store_b32 v5, v6
	v_add_nc_u32_e32 v5, 0x80, v5
	v_cmp_lt_u32_e32 vcc_lo, 0xdf, v2
	s_wait_alu 0xfffe
	s_or_b32 s2, vcc_lo, s2
	s_wait_alu 0xfffe
	s_and_not1_b32 exec_lo, exec_lo, s2
	s_cbranch_execnz .LBB4_7
; %bb.8:
	s_or_b32 exec_lo, exec_lo, s2
	s_load_b32 s2, s[0:1], 0x0
	s_lshl_b32 s4, ttmp9, 3
	s_wait_loadcnt_dscnt 0x0
	global_inv scope:SCOPE_SE
	s_wait_alu 0xfffe
	v_and_or_b32 v1, 0x7fffff8, s4, v1
	s_wait_kmcnt 0x0
	s_delay_alu instid0(VALU_DEP_1)
	v_cmp_gt_i32_e32 vcc_lo, s2, v1
	s_and_saveexec_b32 s2, vcc_lo
	s_cbranch_execz .LBB4_80
; %bb.9:
	s_load_b512 s[4:19], s[0:1], 0x8
	v_lshlrev_b32_e32 v1, 2, v1
	v_lshlrev_b32_e32 v0, 5, v0
	s_mov_b32 s2, exec_lo
	s_delay_alu instid0(VALU_DEP_1) | instskip(NEXT) | instid1(VALU_DEP_1)
	v_and_b32_e32 v0, 0x1c00, v0
	v_or_b32_e32 v14, 0x2000, v0
	s_wait_kmcnt 0x0
	global_load_b32 v5, v1, s[14:15]
	s_wait_loadcnt 0x0
	v_ashrrev_i32_e32 v6, 31, v5
	s_delay_alu instid0(VALU_DEP_1) | instskip(NEXT) | instid1(VALU_DEP_1)
	v_lshlrev_b64_e32 v[1:2], 2, v[5:6]
	v_add_co_u32 v6, vcc_lo, s4, v1
	s_delay_alu instid0(VALU_DEP_1)
	v_add_co_ci_u32_e64 v7, null, s5, v2, vcc_lo
	v_add_co_u32 v9, vcc_lo, s10, v1
	s_wait_alu 0xfffd
	v_add_co_ci_u32_e64 v10, null, s11, v2, vcc_lo
	global_load_b64 v[7:8], v[6:7], off
	global_load_b32 v6, v[9:10], off
	s_wait_loadcnt 0x1
	v_subrev_nc_u32_e32 v7, s28, v7
	v_subrev_nc_u32_e32 v10, s28, v8
	s_delay_alu instid0(VALU_DEP_2) | instskip(NEXT) | instid1(VALU_DEP_1)
	v_add_nc_u32_e32 v8, v7, v13
	v_cmpx_lt_i32_e64 v8, v10
	s_cbranch_execz .LBB4_32
; %bb.10:
	v_mov_b32_e32 v11, -1
	s_mov_b32 s14, 0
	s_branch .LBB4_12
.LBB4_11:                               ;   in Loop: Header=BB4_12 Depth=1
	s_or_b32 exec_lo, exec_lo, s15
	v_add_nc_u32_e32 v8, 32, v8
	s_delay_alu instid0(VALU_DEP_1) | instskip(SKIP_1) | instid1(SALU_CYCLE_1)
	v_cmp_ge_i32_e32 vcc_lo, v8, v10
	s_or_b32 s14, vcc_lo, s14
	s_and_not1_b32 exec_lo, exec_lo, s14
	s_cbranch_execz .LBB4_32
.LBB4_12:                               ; =>This Loop Header: Depth=1
                                        ;     Child Loop BB4_21 Depth 2
	v_ashrrev_i32_e32 v9, 31, v8
	v_mov_b32_e32 v12, 0x100
	s_mov_b32 s15, 0
                                        ; implicit-def: $sgpr22
                                        ; implicit-def: $sgpr23
                                        ; implicit-def: $sgpr24
	s_delay_alu instid0(VALU_DEP_2) | instskip(NEXT) | instid1(VALU_DEP_1)
	v_lshlrev_b64_e32 v[15:16], 2, v[8:9]
	v_add_co_u32 v15, vcc_lo, s6, v15
	s_wait_alu 0xfffd
	s_delay_alu instid0(VALU_DEP_2)
	v_add_co_ci_u32_e64 v16, null, s7, v16, vcc_lo
	global_load_b32 v9, v[15:16], off
	s_wait_loadcnt 0x0
	v_mul_lo_u32 v16, 0x67, v9
	s_branch .LBB4_21
.LBB4_13:                               ;   in Loop: Header=BB4_21 Depth=2
	s_or_b32 exec_lo, exec_lo, s38
	s_delay_alu instid0(SALU_CYCLE_1)
	s_or_not1_b32 s36, s36, exec_lo
	s_or_not1_b32 s37, s37, exec_lo
.LBB4_14:                               ;   in Loop: Header=BB4_21 Depth=2
	s_or_b32 exec_lo, exec_lo, s35
	s_delay_alu instid0(SALU_CYCLE_1)
	s_and_b32 s36, s36, exec_lo
	s_or_not1_b32 s35, s37, exec_lo
.LBB4_15:                               ;   in Loop: Header=BB4_21 Depth=2
	s_or_b32 exec_lo, exec_lo, s34
	s_delay_alu instid0(SALU_CYCLE_1)
	s_or_not1_b32 s34, s36, exec_lo
	s_or_not1_b32 s35, s35, exec_lo
.LBB4_16:                               ;   in Loop: Header=BB4_21 Depth=2
	s_or_b32 exec_lo, exec_lo, s33
	s_delay_alu instid0(SALU_CYCLE_1)
	s_and_b32 s34, s34, exec_lo
	s_or_not1_b32 s33, s35, exec_lo
.LBB4_17:                               ;   in Loop: Header=BB4_21 Depth=2
	s_or_b32 exec_lo, exec_lo, s31
	s_delay_alu instid0(SALU_CYCLE_1)
	s_or_not1_b32 s31, s34, exec_lo
	s_or_not1_b32 s33, s33, exec_lo
.LBB4_18:                               ;   in Loop: Header=BB4_21 Depth=2
	s_or_b32 exec_lo, exec_lo, s27
	s_delay_alu instid0(SALU_CYCLE_1)
	s_and_b32 s31, s31, exec_lo
	s_or_not1_b32 s27, s33, exec_lo
.LBB4_19:                               ;   in Loop: Header=BB4_21 Depth=2
	s_or_b32 exec_lo, exec_lo, s26
	s_wait_alu 0xfffe
	s_and_not1_b32 s24, s24, exec_lo
	s_and_b32 s26, s31, exec_lo
	s_and_not1_b32 s23, s23, exec_lo
	s_and_b32 s27, s27, exec_lo
	s_wait_alu 0xfffe
	s_or_b32 s24, s24, s26
	s_or_b32 s23, s23, s27
.LBB4_20:                               ;   in Loop: Header=BB4_21 Depth=2
	s_wait_alu 0xfffe
	s_or_b32 exec_lo, exec_lo, s25
	s_delay_alu instid0(SALU_CYCLE_1)
	s_and_b32 s25, exec_lo, s23
	s_wait_alu 0xfffe
	s_or_b32 s15, s25, s15
	s_and_not1_b32 s22, s22, exec_lo
	s_and_b32 s25, s24, exec_lo
	s_wait_alu 0xfffe
	s_or_b32 s22, s22, s25
	s_and_not1_b32 exec_lo, exec_lo, s15
	s_cbranch_execz .LBB4_30
.LBB4_21:                               ;   Parent Loop BB4_12 Depth=1
                                        ; =>  This Inner Loop Header: Depth=2
	s_delay_alu instid0(VALU_DEP_1) | instskip(SKIP_3) | instid1(VALU_DEP_1)
	v_and_b32_e32 v15, 0xff, v16
	s_or_b32 s24, s24, exec_lo
	s_or_b32 s23, s23, exec_lo
	s_mov_b32 s25, exec_lo
	v_lshl_add_u32 v17, v15, 2, v14
	ds_load_b32 v18, v17
	s_wait_dscnt 0x0
	v_cmpx_ne_u32_e64 v18, v9
	s_cbranch_execz .LBB4_20
; %bb.22:                               ;   in Loop: Header=BB4_21 Depth=2
	ds_cmpstore_rtn_b32 v17, v17, v9, v11
	s_mov_b32 s27, -1
	s_mov_b32 s31, 0
	s_mov_b32 s26, exec_lo
	s_wait_dscnt 0x0
	v_cmpx_ne_u32_e32 -1, v17
	s_cbranch_execz .LBB4_19
; %bb.23:                               ;   in Loop: Header=BB4_21 Depth=2
	v_add_nc_u32_e32 v15, 1, v16
	s_mov_b32 s33, -1
	s_mov_b32 s31, -1
	s_mov_b32 s27, exec_lo
	s_delay_alu instid0(VALU_DEP_1) | instskip(NEXT) | instid1(VALU_DEP_1)
	v_and_b32_e32 v15, 0xff, v15
	v_lshl_add_u32 v17, v15, 2, v14
	ds_load_b32 v18, v17
	s_wait_dscnt 0x0
	v_cmpx_ne_u32_e64 v18, v9
	s_cbranch_execz .LBB4_18
; %bb.24:                               ;   in Loop: Header=BB4_21 Depth=2
	ds_cmpstore_rtn_b32 v17, v17, v9, v11
	s_mov_b32 s34, 0
	s_mov_b32 s31, exec_lo
	s_wait_dscnt 0x0
	v_cmpx_ne_u32_e32 -1, v17
	s_cbranch_execz .LBB4_17
; %bb.25:                               ;   in Loop: Header=BB4_21 Depth=2
	v_add_nc_u32_e32 v15, 2, v16
	s_mov_b32 s35, -1
	s_mov_b32 s34, -1
	s_mov_b32 s33, exec_lo
	s_delay_alu instid0(VALU_DEP_1) | instskip(NEXT) | instid1(VALU_DEP_1)
	v_and_b32_e32 v15, 0xff, v15
	v_lshl_add_u32 v17, v15, 2, v14
	ds_load_b32 v18, v17
	s_wait_dscnt 0x0
	v_cmpx_ne_u32_e64 v18, v9
	s_cbranch_execz .LBB4_16
; %bb.26:                               ;   in Loop: Header=BB4_21 Depth=2
	ds_cmpstore_rtn_b32 v17, v17, v9, v11
	s_mov_b32 s36, 0
	s_mov_b32 s34, exec_lo
	s_wait_dscnt 0x0
	v_cmpx_ne_u32_e32 -1, v17
	s_cbranch_execz .LBB4_15
; %bb.27:                               ;   in Loop: Header=BB4_21 Depth=2
	v_add_nc_u32_e32 v15, 3, v16
	s_mov_b32 s37, -1
	s_mov_b32 s36, -1
	s_delay_alu instid0(VALU_DEP_1) | instskip(NEXT) | instid1(VALU_DEP_1)
	v_and_b32_e32 v15, 0xff, v15
	v_lshl_add_u32 v17, v15, 2, v14
	ds_load_b32 v16, v17
	s_wait_dscnt 0x0
	v_cmp_ne_u32_e32 vcc_lo, v16, v9
                                        ; implicit-def: $vgpr16
	s_and_saveexec_b32 s35, vcc_lo
	s_cbranch_execz .LBB4_14
; %bb.28:                               ;   in Loop: Header=BB4_21 Depth=2
	ds_cmpstore_rtn_b32 v16, v17, v9, v11
	s_mov_b32 s36, 0
	s_wait_dscnt 0x0
	v_cmp_ne_u32_e32 vcc_lo, -1, v16
                                        ; implicit-def: $vgpr16
	s_and_saveexec_b32 s38, vcc_lo
	s_cbranch_execz .LBB4_13
; %bb.29:                               ;   in Loop: Header=BB4_21 Depth=2
	v_add_nc_u32_e32 v12, -4, v12
	v_add_nc_u32_e32 v16, 1, v15
	s_mov_b32 s36, exec_lo
	s_delay_alu instid0(VALU_DEP_2)
	v_cmp_eq_u32_e32 vcc_lo, 0, v12
	s_or_not1_b32 s37, vcc_lo, exec_lo
	s_branch .LBB4_13
.LBB4_30:                               ;   in Loop: Header=BB4_12 Depth=1
	s_or_b32 exec_lo, exec_lo, s15
	s_xor_b32 s15, s22, -1
	s_delay_alu instid0(SALU_CYCLE_1) | instskip(NEXT) | instid1(SALU_CYCLE_1)
	s_and_saveexec_b32 s22, s15
	s_xor_b32 s15, exec_lo, s22
	s_cbranch_execz .LBB4_11
; %bb.31:                               ;   in Loop: Header=BB4_12 Depth=1
	v_lshl_add_u32 v9, v15, 2, v0
	ds_store_b32 v9, v8
	s_branch .LBB4_11
.LBB4_32:
	s_wait_alu 0xfffe
	s_or_b32 exec_lo, exec_lo, s2
	s_delay_alu instid0(SALU_CYCLE_1)
	s_mov_b32 s2, exec_lo
	s_wait_loadcnt_dscnt 0x0
	global_inv scope:SCOPE_SE
	v_cmpx_lt_i32_e64 v7, v6
	s_cbranch_execz .LBB4_62
; %bb.33:
	v_add_nc_u32_e32 v15, 1, v13
	s_mov_b32 s14, 0
	s_branch .LBB4_36
.LBB4_34:                               ;   in Loop: Header=BB4_36 Depth=1
	s_or_b32 exec_lo, exec_lo, s22
	v_add_nc_u32_e32 v7, 1, v7
	s_delay_alu instid0(VALU_DEP_1)
	v_cmp_ge_i32_e32 vcc_lo, v7, v6
	s_or_not1_b32 s22, vcc_lo, exec_lo
.LBB4_35:                               ;   in Loop: Header=BB4_36 Depth=1
	s_or_b32 exec_lo, exec_lo, s15
	s_delay_alu instid0(SALU_CYCLE_1) | instskip(NEXT) | instid1(SALU_CYCLE_1)
	s_and_b32 s15, exec_lo, s22
	s_or_b32 s14, s15, s14
	s_delay_alu instid0(SALU_CYCLE_1)
	s_and_not1_b32 exec_lo, exec_lo, s14
	s_cbranch_execz .LBB4_62
.LBB4_36:                               ; =>This Loop Header: Depth=1
                                        ;     Child Loop BB4_37 Depth 2
                                        ;     Child Loop BB4_42 Depth 2
                                        ;       Child Loop BB4_51 Depth 3
	v_ashrrev_i32_e32 v8, 31, v7
	s_mov_b32 s15, 0
	s_delay_alu instid0(VALU_DEP_1) | instskip(NEXT) | instid1(VALU_DEP_1)
	v_lshlrev_b64_e32 v[9:10], 2, v[7:8]
	v_add_co_u32 v11, vcc_lo, s6, v9
	s_wait_alu 0xfffd
	s_delay_alu instid0(VALU_DEP_2)
	v_add_co_ci_u32_e64 v12, null, s7, v10, vcc_lo
	v_add_co_u32 v9, vcc_lo, s8, v9
	s_wait_alu 0xfffd
	v_add_co_ci_u32_e64 v10, null, s9, v10, vcc_lo
	global_load_b32 v8, v[11:12], off
	s_wait_loadcnt 0x0
	v_subrev_nc_u32_e32 v11, s28, v8
	s_delay_alu instid0(VALU_DEP_1) | instskip(NEXT) | instid1(VALU_DEP_1)
	v_ashrrev_i32_e32 v12, 31, v11
	v_lshlrev_b64_e32 v[11:12], 2, v[11:12]
	s_delay_alu instid0(VALU_DEP_1) | instskip(SKIP_1) | instid1(VALU_DEP_2)
	v_add_co_u32 v18, vcc_lo, s4, v11
	s_wait_alu 0xfffd
	v_add_co_ci_u32_e64 v19, null, s5, v12, vcc_lo
	v_add_co_u32 v20, vcc_lo, s10, v11
	s_wait_alu 0xfffd
	v_add_co_ci_u32_e64 v21, null, s11, v12, vcc_lo
	global_load_b32 v17, v[9:10], off
	global_load_b32 v8, v[18:19], off offset:4
	global_load_b32 v18, v[20:21], off
	v_add_co_u32 v11, vcc_lo, s12, v11
	s_wait_alu 0xfffd
	v_add_co_ci_u32_e64 v12, null, s13, v12, vcc_lo
.LBB4_37:                               ;   Parent Loop BB4_36 Depth=1
                                        ; =>  This Inner Loop Header: Depth=2
	global_load_b32 v16, v[11:12], off scope:SCOPE_DEV
	s_wait_loadcnt 0x0
	v_cmp_ne_u32_e32 vcc_lo, 0, v16
	s_or_b32 s15, vcc_lo, s15
	s_delay_alu instid0(SALU_CYCLE_1)
	s_and_not1_b32 exec_lo, exec_lo, s15
	s_cbranch_execnz .LBB4_37
; %bb.38:                               ;   in Loop: Header=BB4_36 Depth=1
	s_or_b32 exec_lo, exec_lo, s15
	v_subrev_nc_u32_e32 v16, s28, v8
	v_cmp_eq_u32_e32 vcc_lo, -1, v18
	global_inv scope:SCOPE_DEV
	s_mov_b32 s22, -1
	s_mov_b32 s15, exec_lo
	v_add_nc_u32_e32 v8, -1, v16
	s_wait_alu 0xfffd
	s_delay_alu instid0(VALU_DEP_1) | instskip(NEXT) | instid1(VALU_DEP_1)
	v_cndmask_b32_e32 v11, v18, v8, vcc_lo
	v_ashrrev_i32_e32 v12, 31, v11
	s_delay_alu instid0(VALU_DEP_1) | instskip(NEXT) | instid1(VALU_DEP_1)
	v_lshlrev_b64_e32 v[18:19], 2, v[11:12]
	v_add_co_u32 v18, vcc_lo, s8, v18
	s_wait_alu 0xfffd
	s_delay_alu instid0(VALU_DEP_2)
	v_add_co_ci_u32_e64 v19, null, s9, v19, vcc_lo
	global_load_b32 v12, v[18:19], off
	s_wait_loadcnt 0x0
	v_cmpx_neq_f32_e32 0, v12
	s_cbranch_execz .LBB4_35
; %bb.39:                               ;   in Loop: Header=BB4_36 Depth=1
	v_div_scale_f32 v8, null, v12, v12, v17
	s_mov_b32 s22, exec_lo
	v_rcp_f32_e32 v18, v8
	s_delay_alu instid0(TRANS32_DEP_1) | instskip(NEXT) | instid1(VALU_DEP_1)
	v_fma_f32 v19, -v8, v18, 1.0
	v_fmac_f32_e32 v18, v19, v18
	v_div_scale_f32 v19, vcc_lo, v17, v12, v17
	s_delay_alu instid0(VALU_DEP_1) | instskip(NEXT) | instid1(VALU_DEP_1)
	v_mul_f32_e32 v20, v19, v18
	v_fma_f32 v21, -v8, v20, v19
	s_delay_alu instid0(VALU_DEP_1) | instskip(NEXT) | instid1(VALU_DEP_1)
	v_fmac_f32_e32 v20, v21, v18
	v_fma_f32 v8, -v8, v20, v19
	s_wait_alu 0xfffd
	s_delay_alu instid0(VALU_DEP_1) | instskip(SKIP_1) | instid1(VALU_DEP_2)
	v_div_fmas_f32 v18, v8, v18, v20
	v_add_nc_u32_e32 v8, v15, v11
	v_div_fixup_f32 v11, v18, v12, v17
	global_store_b32 v[9:10], v11, off
	v_cmpx_lt_i32_e64 v8, v16
	s_cbranch_execz .LBB4_34
; %bb.40:                               ;   in Loop: Header=BB4_36 Depth=1
	s_mov_b32 s23, 0
	s_branch .LBB4_42
.LBB4_41:                               ;   in Loop: Header=BB4_42 Depth=2
	s_wait_alu 0xfffe
	s_or_b32 exec_lo, exec_lo, s24
	v_add_nc_u32_e32 v8, 32, v8
	s_delay_alu instid0(VALU_DEP_1) | instskip(SKIP_1) | instid1(SALU_CYCLE_1)
	v_cmp_ge_i32_e32 vcc_lo, v8, v16
	s_or_b32 s23, vcc_lo, s23
	s_and_not1_b32 exec_lo, exec_lo, s23
	s_cbranch_execz .LBB4_34
.LBB4_42:                               ;   Parent Loop BB4_36 Depth=1
                                        ; =>  This Loop Header: Depth=2
                                        ;       Child Loop BB4_51 Depth 3
	v_ashrrev_i32_e32 v9, 31, v8
	s_mov_b32 s24, 0
                                        ; implicit-def: $sgpr25
                                        ; implicit-def: $sgpr26
                                        ; implicit-def: $sgpr27
	s_delay_alu instid0(VALU_DEP_1) | instskip(NEXT) | instid1(VALU_DEP_1)
	v_lshlrev_b64_e32 v[9:10], 2, v[8:9]
	v_add_co_u32 v17, vcc_lo, s6, v9
	s_wait_alu 0xfffd
	s_delay_alu instid0(VALU_DEP_2)
	v_add_co_ci_u32_e64 v18, null, s7, v10, vcc_lo
	global_load_b32 v12, v[17:18], off
	v_mov_b32_e32 v17, 0x100
	s_wait_loadcnt 0x0
	v_mul_lo_u32 v19, 0x67, v12
	s_branch .LBB4_51
.LBB4_43:                               ;   in Loop: Header=BB4_51 Depth=3
	s_or_b32 exec_lo, exec_lo, s41
	s_delay_alu instid0(SALU_CYCLE_1)
	s_or_not1_b32 s39, s39, exec_lo
	s_or_not1_b32 s40, s40, exec_lo
.LBB4_44:                               ;   in Loop: Header=BB4_51 Depth=3
	s_or_b32 exec_lo, exec_lo, s38
	s_delay_alu instid0(SALU_CYCLE_1)
	s_and_b32 s39, s39, exec_lo
	s_or_not1_b32 s38, s40, exec_lo
.LBB4_45:                               ;   in Loop: Header=BB4_51 Depth=3
	s_or_b32 exec_lo, exec_lo, s37
	s_delay_alu instid0(SALU_CYCLE_1)
	s_or_not1_b32 s37, s39, exec_lo
	s_or_not1_b32 s38, s38, exec_lo
.LBB4_46:                               ;   in Loop: Header=BB4_51 Depth=3
	s_or_b32 exec_lo, exec_lo, s36
	s_delay_alu instid0(SALU_CYCLE_1)
	s_and_b32 s37, s37, exec_lo
	s_or_not1_b32 s36, s38, exec_lo
.LBB4_47:                               ;   in Loop: Header=BB4_51 Depth=3
	s_or_b32 exec_lo, exec_lo, s35
	s_delay_alu instid0(SALU_CYCLE_1)
	s_or_not1_b32 s35, s37, exec_lo
	s_or_not1_b32 s36, s36, exec_lo
.LBB4_48:                               ;   in Loop: Header=BB4_51 Depth=3
	s_or_b32 exec_lo, exec_lo, s34
	s_delay_alu instid0(SALU_CYCLE_1)
	s_and_b32 s35, s35, exec_lo
	s_or_not1_b32 s34, s36, exec_lo
.LBB4_49:                               ;   in Loop: Header=BB4_51 Depth=3
	s_or_b32 exec_lo, exec_lo, s33
	s_delay_alu instid0(SALU_CYCLE_1)
	s_and_not1_b32 s27, s27, exec_lo
	s_and_b32 s33, s35, exec_lo
	s_and_not1_b32 s26, s26, exec_lo
	s_and_b32 s34, s34, exec_lo
	s_or_b32 s27, s27, s33
	s_or_b32 s26, s26, s34
.LBB4_50:                               ;   in Loop: Header=BB4_51 Depth=3
	s_or_b32 exec_lo, exec_lo, s31
	s_delay_alu instid0(SALU_CYCLE_1)
	s_and_b32 s31, exec_lo, s26
	s_wait_alu 0xfffe
	s_or_b32 s24, s31, s24
	s_and_not1_b32 s25, s25, exec_lo
	s_and_b32 s31, s27, exec_lo
	s_wait_alu 0xfffe
	s_or_b32 s25, s25, s31
	s_and_not1_b32 exec_lo, exec_lo, s24
	s_cbranch_execz .LBB4_60
.LBB4_51:                               ;   Parent Loop BB4_36 Depth=1
                                        ;     Parent Loop BB4_42 Depth=2
                                        ; =>    This Inner Loop Header: Depth=3
	s_delay_alu instid0(VALU_DEP_1) | instskip(SKIP_3) | instid1(VALU_DEP_1)
	v_and_b32_e32 v18, 0xff, v19
	s_or_b32 s27, s27, exec_lo
	s_or_b32 s26, s26, exec_lo
	s_mov_b32 s31, exec_lo
	v_lshl_add_u32 v20, v18, 2, v14
	ds_load_b32 v20, v20
	s_wait_dscnt 0x0
	v_cmpx_ne_u32_e32 -1, v20
	s_cbranch_execz .LBB4_50
; %bb.52:                               ;   in Loop: Header=BB4_51 Depth=3
	s_mov_b32 s34, -1
	s_mov_b32 s35, 0
	s_mov_b32 s33, exec_lo
	v_cmpx_ne_u32_e64 v20, v12
	s_cbranch_execz .LBB4_49
; %bb.53:                               ;   in Loop: Header=BB4_51 Depth=3
	v_add_nc_u32_e32 v18, 1, v19
	s_mov_b32 s36, -1
	s_mov_b32 s35, -1
	s_mov_b32 s34, exec_lo
	s_delay_alu instid0(VALU_DEP_1) | instskip(NEXT) | instid1(VALU_DEP_1)
	v_and_b32_e32 v18, 0xff, v18
	v_lshl_add_u32 v20, v18, 2, v14
	ds_load_b32 v20, v20
	s_wait_dscnt 0x0
	v_cmpx_ne_u32_e32 -1, v20
	s_cbranch_execz .LBB4_48
; %bb.54:                               ;   in Loop: Header=BB4_51 Depth=3
	s_mov_b32 s37, 0
	s_mov_b32 s35, exec_lo
	v_cmpx_ne_u32_e64 v20, v12
	s_cbranch_execz .LBB4_47
; %bb.55:                               ;   in Loop: Header=BB4_51 Depth=3
	v_add_nc_u32_e32 v18, 2, v19
	s_mov_b32 s38, -1
	s_mov_b32 s37, -1
	s_mov_b32 s36, exec_lo
	s_delay_alu instid0(VALU_DEP_1) | instskip(NEXT) | instid1(VALU_DEP_1)
	v_and_b32_e32 v18, 0xff, v18
	v_lshl_add_u32 v20, v18, 2, v14
	ds_load_b32 v20, v20
	s_wait_dscnt 0x0
	v_cmpx_ne_u32_e32 -1, v20
	s_cbranch_execz .LBB4_46
; %bb.56:                               ;   in Loop: Header=BB4_51 Depth=3
	s_mov_b32 s39, 0
	s_mov_b32 s37, exec_lo
	v_cmpx_ne_u32_e64 v20, v12
	s_cbranch_execz .LBB4_45
; %bb.57:                               ;   in Loop: Header=BB4_51 Depth=3
	v_add_nc_u32_e32 v18, 3, v19
	s_mov_b32 s40, -1
	s_mov_b32 s39, -1
	s_mov_b32 s38, exec_lo
	s_delay_alu instid0(VALU_DEP_1) | instskip(NEXT) | instid1(VALU_DEP_1)
	v_and_b32_e32 v18, 0xff, v18
	v_lshl_add_u32 v19, v18, 2, v14
	ds_load_b32 v20, v19
                                        ; implicit-def: $vgpr19
	s_wait_dscnt 0x0
	v_cmpx_ne_u32_e32 -1, v20
	s_cbranch_execz .LBB4_44
; %bb.58:                               ;   in Loop: Header=BB4_51 Depth=3
	s_mov_b32 s39, 0
	s_mov_b32 s41, exec_lo
                                        ; implicit-def: $vgpr19
	v_cmpx_ne_u32_e64 v20, v12
	s_cbranch_execz .LBB4_43
; %bb.59:                               ;   in Loop: Header=BB4_51 Depth=3
	v_add_nc_u32_e32 v17, -4, v17
	v_add_nc_u32_e32 v19, 1, v18
	s_mov_b32 s39, exec_lo
	s_delay_alu instid0(VALU_DEP_2)
	v_cmp_eq_u32_e32 vcc_lo, 0, v17
	s_or_not1_b32 s40, vcc_lo, exec_lo
	s_branch .LBB4_43
.LBB4_60:                               ;   in Loop: Header=BB4_42 Depth=2
	s_or_b32 exec_lo, exec_lo, s24
	s_wait_alu 0xfffe
	s_xor_b32 s24, s25, -1
	s_wait_alu 0xfffe
	s_and_saveexec_b32 s25, s24
	s_wait_alu 0xfffe
	s_xor_b32 s24, exec_lo, s25
	s_cbranch_execz .LBB4_41
; %bb.61:                               ;   in Loop: Header=BB4_42 Depth=2
	v_lshl_add_u32 v12, v18, 2, v0
	v_add_co_u32 v9, vcc_lo, s8, v9
	s_wait_alu 0xfffd
	v_add_co_ci_u32_e64 v10, null, s9, v10, vcc_lo
	ds_load_b32 v17, v12
	s_wait_dscnt 0x0
	v_ashrrev_i32_e32 v18, 31, v17
	s_delay_alu instid0(VALU_DEP_1) | instskip(NEXT) | instid1(VALU_DEP_1)
	v_lshlrev_b64_e32 v[17:18], 2, v[17:18]
	v_add_co_u32 v17, vcc_lo, s8, v17
	s_wait_alu 0xfffd
	s_delay_alu instid0(VALU_DEP_2)
	v_add_co_ci_u32_e64 v18, null, s9, v18, vcc_lo
	s_clause 0x1
	global_load_b32 v9, v[9:10], off
	global_load_b32 v10, v[17:18], off
	s_wait_loadcnt 0x0
	v_fma_f32 v9, -v11, v9, v10
	global_store_b32 v[17:18], v9, off
	s_branch .LBB4_41
.LBB4_62:
	s_wait_alu 0xfffe
	s_or_b32 exec_lo, exec_lo, s2
	s_mov_b32 s5, -1
	s_mov_b32 s4, exec_lo
	s_wait_loadcnt 0x0
	s_wait_storecnt 0x0
	global_inv scope:SCOPE_SE
	v_cmpx_lt_i32_e32 -1, v6
	s_cbranch_execz .LBB4_78
; %bb.63:
	v_mov_b32_e32 v7, 0
	v_cmp_eq_u32_e64 s2, 0, v13
	s_delay_alu instid0(VALU_DEP_2) | instskip(NEXT) | instid1(VALU_DEP_1)
	v_lshlrev_b64_e32 v[6:7], 2, v[6:7]
	v_add_co_u32 v8, vcc_lo, s8, v6
	s_wait_alu 0xfffd
	s_delay_alu instid0(VALU_DEP_2)
	v_add_co_ci_u32_e64 v9, null, s9, v7, vcc_lo
	global_load_b32 v0, v[8:9], off
	s_wait_loadcnt 0x0
	v_cmp_gt_f32_e32 vcc_lo, 0, v0
	s_wait_alu 0xfffd
	v_cndmask_b32_e64 v6, v0, -v0, vcc_lo
	s_and_not1_b32 vcc_lo, exec_lo, s29
	s_delay_alu instid0(VALU_DEP_1)
	v_cvt_f64_f32_e32 v[6:7], v6
	s_wait_alu 0xfffe
	s_cbranch_vccnz .LBB4_67
; %bb.64:
	v_cvt_f64_f32_e32 v[10:11], s30
	s_cmp_eq_u64 s[20:21], 8
	s_cselect_b32 vcc_lo, -1, 0
	s_wait_alu 0xfffe
	s_delay_alu instid0(VALU_DEP_1) | instskip(NEXT) | instid1(VALU_DEP_1)
	v_dual_cndmask_b32 v4, v11, v4 :: v_dual_cndmask_b32 v3, v10, v3
	v_cmp_ge_f64_e32 vcc_lo, v[3:4], v[6:7]
	s_and_b32 s6, s2, vcc_lo
	s_wait_alu 0xfffe
	s_and_saveexec_b32 s5, s6
	s_cbranch_execz .LBB4_66
; %bb.65:
	v_mov_b32_e32 v3, s3
	global_store_b32 v[8:9], v3, off
	s_wait_storecnt 0x0
	global_inv scope:SCOPE_DEV
.LBB4_66:
	s_wait_alu 0xfffe
	s_or_b32 exec_lo, exec_lo, s5
	s_mov_b32 s5, 0
.LBB4_67:
	s_wait_alu 0xfffe
	s_and_not1_b32 vcc_lo, exec_lo, s5
	s_wait_alu 0xfffe
	s_cbranch_vccnz .LBB4_78
; %bb.68:
	s_load_b64 s[0:1], s[0:1], 0x48
	v_add_nc_u32_e32 v3, s28, v5
	s_wait_kmcnt 0x0
	s_delay_alu instid0(VALU_DEP_2)
	v_cmp_ge_f64_e32 vcc_lo, s[0:1], v[6:7]
	s_and_b32 s1, s2, vcc_lo
	s_wait_alu 0xfffe
	s_and_saveexec_b32 s0, s1
	s_cbranch_execz .LBB4_73
; %bb.69:
	s_mov_b32 s3, exec_lo
	s_brev_b32 s1, -2
.LBB4_70:                               ; =>This Inner Loop Header: Depth=1
	s_wait_alu 0xfffe
	s_ctz_i32_b32 s5, s3
	s_wait_alu 0xfffe
	v_readlane_b32 s6, v3, s5
	s_lshl_b32 s5, 1, s5
	s_wait_alu 0xfffe
	s_and_not1_b32 s3, s3, s5
	s_min_i32 s1, s1, s6
	s_wait_alu 0xfffe
	s_cmp_lg_u32 s3, 0
	s_cbranch_scc1 .LBB4_70
; %bb.71:
	v_mbcnt_lo_u32_b32 v4, exec_lo, 0
	s_mov_b32 s3, exec_lo
	s_delay_alu instid0(VALU_DEP_1)
	v_cmpx_eq_u32_e32 0, v4
	s_wait_alu 0xfffe
	s_xor_b32 s3, exec_lo, s3
	s_cbranch_execz .LBB4_73
; %bb.72:
	v_dual_mov_b32 v4, 0 :: v_dual_mov_b32 v5, s1
	global_atomic_min_i32 v4, v5, s[18:19] scope:SCOPE_DEV
.LBB4_73:
	s_wait_alu 0xfffe
	s_or_b32 exec_lo, exec_lo, s0
	v_cmp_eq_f32_e32 vcc_lo, 0, v0
	s_and_b32 s0, s2, vcc_lo
	s_wait_alu 0xfffe
	s_and_b32 exec_lo, exec_lo, s0
	s_cbranch_execz .LBB4_78
; %bb.74:
	s_mov_b32 s1, exec_lo
	s_brev_b32 s0, -2
.LBB4_75:                               ; =>This Inner Loop Header: Depth=1
	s_wait_alu 0xfffe
	s_ctz_i32_b32 s2, s1
	s_wait_alu 0xfffe
	v_readlane_b32 s3, v3, s2
	s_lshl_b32 s2, 1, s2
	s_wait_alu 0xfffe
	s_and_not1_b32 s1, s1, s2
	s_min_i32 s0, s0, s3
	s_wait_alu 0xfffe
	s_cmp_lg_u32 s1, 0
	s_cbranch_scc1 .LBB4_75
; %bb.76:
	v_mbcnt_lo_u32_b32 v0, exec_lo, 0
	s_mov_b32 s1, exec_lo
	s_delay_alu instid0(VALU_DEP_1)
	v_cmpx_eq_u32_e32 0, v0
	s_wait_alu 0xfffe
	s_xor_b32 s1, exec_lo, s1
	s_cbranch_execz .LBB4_78
; %bb.77:
	v_dual_mov_b32 v0, 0 :: v_dual_mov_b32 v3, s0
	global_atomic_min_i32 v0, v3, s[16:17] scope:SCOPE_DEV
.LBB4_78:
	s_wait_alu 0xfffe
	s_or_b32 exec_lo, exec_lo, s4
	v_cmp_eq_u32_e32 vcc_lo, 0, v13
	s_wait_loadcnt 0x0
	s_wait_storecnt 0x0
	global_inv scope:SCOPE_DEV
	s_and_b32 exec_lo, exec_lo, vcc_lo
	s_cbranch_execz .LBB4_80
; %bb.79:
	v_add_co_u32 v0, vcc_lo, s12, v1
	s_wait_alu 0xfffd
	v_add_co_ci_u32_e64 v1, null, s13, v2, vcc_lo
	v_mov_b32_e32 v2, 1
	s_wait_loadcnt 0x0
	global_store_b32 v[0:1], v2, off scope:SCOPE_DEV
.LBB4_80:
	s_endpgm
	.section	.rodata,"a",@progbits
	.p2align	6, 0x0
	.amdhsa_kernel _ZN9rocsparseL12csrilu0_hashILj256ELj32ELj8EfEEviPKiS2_PT2_S2_PiS2_S5_S5_d21rocsparse_index_base_imNS_24const_host_device_scalarIfEENS7_IdEENS7_IS3_EEb
		.amdhsa_group_segment_fixed_size 16384
		.amdhsa_private_segment_fixed_size 0
		.amdhsa_kernarg_size 124
		.amdhsa_user_sgpr_count 2
		.amdhsa_user_sgpr_dispatch_ptr 0
		.amdhsa_user_sgpr_queue_ptr 0
		.amdhsa_user_sgpr_kernarg_segment_ptr 1
		.amdhsa_user_sgpr_dispatch_id 0
		.amdhsa_user_sgpr_private_segment_size 0
		.amdhsa_wavefront_size32 1
		.amdhsa_uses_dynamic_stack 0
		.amdhsa_enable_private_segment 0
		.amdhsa_system_sgpr_workgroup_id_x 1
		.amdhsa_system_sgpr_workgroup_id_y 0
		.amdhsa_system_sgpr_workgroup_id_z 0
		.amdhsa_system_sgpr_workgroup_info 0
		.amdhsa_system_vgpr_workitem_id 0
		.amdhsa_next_free_vgpr 22
		.amdhsa_next_free_sgpr 42
		.amdhsa_reserve_vcc 1
		.amdhsa_float_round_mode_32 0
		.amdhsa_float_round_mode_16_64 0
		.amdhsa_float_denorm_mode_32 3
		.amdhsa_float_denorm_mode_16_64 3
		.amdhsa_fp16_overflow 0
		.amdhsa_workgroup_processor_mode 1
		.amdhsa_memory_ordered 1
		.amdhsa_forward_progress 1
		.amdhsa_inst_pref_size 26
		.amdhsa_round_robin_scheduling 0
		.amdhsa_exception_fp_ieee_invalid_op 0
		.amdhsa_exception_fp_denorm_src 0
		.amdhsa_exception_fp_ieee_div_zero 0
		.amdhsa_exception_fp_ieee_overflow 0
		.amdhsa_exception_fp_ieee_underflow 0
		.amdhsa_exception_fp_ieee_inexact 0
		.amdhsa_exception_int_div_zero 0
	.end_amdhsa_kernel
	.section	.text._ZN9rocsparseL12csrilu0_hashILj256ELj32ELj8EfEEviPKiS2_PT2_S2_PiS2_S5_S5_d21rocsparse_index_base_imNS_24const_host_device_scalarIfEENS7_IdEENS7_IS3_EEb,"axG",@progbits,_ZN9rocsparseL12csrilu0_hashILj256ELj32ELj8EfEEviPKiS2_PT2_S2_PiS2_S5_S5_d21rocsparse_index_base_imNS_24const_host_device_scalarIfEENS7_IdEENS7_IS3_EEb,comdat
.Lfunc_end4:
	.size	_ZN9rocsparseL12csrilu0_hashILj256ELj32ELj8EfEEviPKiS2_PT2_S2_PiS2_S5_S5_d21rocsparse_index_base_imNS_24const_host_device_scalarIfEENS7_IdEENS7_IS3_EEb, .Lfunc_end4-_ZN9rocsparseL12csrilu0_hashILj256ELj32ELj8EfEEviPKiS2_PT2_S2_PiS2_S5_S5_d21rocsparse_index_base_imNS_24const_host_device_scalarIfEENS7_IdEENS7_IS3_EEb
                                        ; -- End function
	.set _ZN9rocsparseL12csrilu0_hashILj256ELj32ELj8EfEEviPKiS2_PT2_S2_PiS2_S5_S5_d21rocsparse_index_base_imNS_24const_host_device_scalarIfEENS7_IdEENS7_IS3_EEb.num_vgpr, 22
	.set _ZN9rocsparseL12csrilu0_hashILj256ELj32ELj8EfEEviPKiS2_PT2_S2_PiS2_S5_S5_d21rocsparse_index_base_imNS_24const_host_device_scalarIfEENS7_IdEENS7_IS3_EEb.num_agpr, 0
	.set _ZN9rocsparseL12csrilu0_hashILj256ELj32ELj8EfEEviPKiS2_PT2_S2_PiS2_S5_S5_d21rocsparse_index_base_imNS_24const_host_device_scalarIfEENS7_IdEENS7_IS3_EEb.numbered_sgpr, 42
	.set _ZN9rocsparseL12csrilu0_hashILj256ELj32ELj8EfEEviPKiS2_PT2_S2_PiS2_S5_S5_d21rocsparse_index_base_imNS_24const_host_device_scalarIfEENS7_IdEENS7_IS3_EEb.num_named_barrier, 0
	.set _ZN9rocsparseL12csrilu0_hashILj256ELj32ELj8EfEEviPKiS2_PT2_S2_PiS2_S5_S5_d21rocsparse_index_base_imNS_24const_host_device_scalarIfEENS7_IdEENS7_IS3_EEb.private_seg_size, 0
	.set _ZN9rocsparseL12csrilu0_hashILj256ELj32ELj8EfEEviPKiS2_PT2_S2_PiS2_S5_S5_d21rocsparse_index_base_imNS_24const_host_device_scalarIfEENS7_IdEENS7_IS3_EEb.uses_vcc, 1
	.set _ZN9rocsparseL12csrilu0_hashILj256ELj32ELj8EfEEviPKiS2_PT2_S2_PiS2_S5_S5_d21rocsparse_index_base_imNS_24const_host_device_scalarIfEENS7_IdEENS7_IS3_EEb.uses_flat_scratch, 0
	.set _ZN9rocsparseL12csrilu0_hashILj256ELj32ELj8EfEEviPKiS2_PT2_S2_PiS2_S5_S5_d21rocsparse_index_base_imNS_24const_host_device_scalarIfEENS7_IdEENS7_IS3_EEb.has_dyn_sized_stack, 0
	.set _ZN9rocsparseL12csrilu0_hashILj256ELj32ELj8EfEEviPKiS2_PT2_S2_PiS2_S5_S5_d21rocsparse_index_base_imNS_24const_host_device_scalarIfEENS7_IdEENS7_IS3_EEb.has_recursion, 0
	.set _ZN9rocsparseL12csrilu0_hashILj256ELj32ELj8EfEEviPKiS2_PT2_S2_PiS2_S5_S5_d21rocsparse_index_base_imNS_24const_host_device_scalarIfEENS7_IdEENS7_IS3_EEb.has_indirect_call, 0
	.section	.AMDGPU.csdata,"",@progbits
; Kernel info:
; codeLenInByte = 3204
; TotalNumSgprs: 44
; NumVgprs: 22
; ScratchSize: 0
; MemoryBound: 0
; FloatMode: 240
; IeeeMode: 1
; LDSByteSize: 16384 bytes/workgroup (compile time only)
; SGPRBlocks: 0
; VGPRBlocks: 2
; NumSGPRsForWavesPerEU: 44
; NumVGPRsForWavesPerEU: 22
; Occupancy: 16
; WaveLimiterHint : 1
; COMPUTE_PGM_RSRC2:SCRATCH_EN: 0
; COMPUTE_PGM_RSRC2:USER_SGPR: 2
; COMPUTE_PGM_RSRC2:TRAP_HANDLER: 0
; COMPUTE_PGM_RSRC2:TGID_X_EN: 1
; COMPUTE_PGM_RSRC2:TGID_Y_EN: 0
; COMPUTE_PGM_RSRC2:TGID_Z_EN: 0
; COMPUTE_PGM_RSRC2:TIDIG_COMP_CNT: 0
	.section	.text._ZN9rocsparseL12csrilu0_hashILj256ELj32ELj16EfEEviPKiS2_PT2_S2_PiS2_S5_S5_d21rocsparse_index_base_imNS_24const_host_device_scalarIfEENS7_IdEENS7_IS3_EEb,"axG",@progbits,_ZN9rocsparseL12csrilu0_hashILj256ELj32ELj16EfEEviPKiS2_PT2_S2_PiS2_S5_S5_d21rocsparse_index_base_imNS_24const_host_device_scalarIfEENS7_IdEENS7_IS3_EEb,comdat
	.globl	_ZN9rocsparseL12csrilu0_hashILj256ELj32ELj16EfEEviPKiS2_PT2_S2_PiS2_S5_S5_d21rocsparse_index_base_imNS_24const_host_device_scalarIfEENS7_IdEENS7_IS3_EEb ; -- Begin function _ZN9rocsparseL12csrilu0_hashILj256ELj32ELj16EfEEviPKiS2_PT2_S2_PiS2_S5_S5_d21rocsparse_index_base_imNS_24const_host_device_scalarIfEENS7_IdEENS7_IS3_EEb
	.p2align	8
	.type	_ZN9rocsparseL12csrilu0_hashILj256ELj32ELj16EfEEviPKiS2_PT2_S2_PiS2_S5_S5_d21rocsparse_index_base_imNS_24const_host_device_scalarIfEENS7_IdEENS7_IS3_EEb,@function
_ZN9rocsparseL12csrilu0_hashILj256ELj32ELj16EfEEviPKiS2_PT2_S2_PiS2_S5_S5_d21rocsparse_index_base_imNS_24const_host_device_scalarIfEENS7_IdEENS7_IS3_EEb: ; @_ZN9rocsparseL12csrilu0_hashILj256ELj32ELj16EfEEviPKiS2_PT2_S2_PiS2_S5_S5_d21rocsparse_index_base_imNS_24const_host_device_scalarIfEENS7_IdEENS7_IS3_EEb
; %bb.0:
	s_clause 0x2
	s_load_b32 s2, s[0:1], 0x78
	s_load_b64 s[28:29], s[0:1], 0x50
	s_load_b256 s[20:27], s[0:1], 0x58
	s_wait_kmcnt 0x0
	s_bitcmp1_b32 s2, 0
	s_cselect_b32 s2, -1, 0
	s_cmp_eq_u32 s29, 0
	s_cselect_b32 s4, -1, 0
	s_cmp_lg_u32 s29, 0
	s_cselect_b32 s29, -1, 0
	s_or_b32 s6, s4, s2
	s_delay_alu instid0(SALU_CYCLE_1)
	s_xor_b32 s5, s6, -1
	s_and_b32 s2, s4, exec_lo
	s_cselect_b32 s3, 0, s25
	s_cselect_b32 s2, 0, s24
	;; [unrolled: 1-line block ×3, first 2 shown]
	s_and_b32 vcc_lo, exec_lo, s6
	s_cbranch_vccnz .LBB5_2
; %bb.1:
	s_load_b32 s30, s[22:23], 0x0
	s_mov_b64 s[2:3], s[24:25]
.LBB5_2:
	v_cndmask_b32_e64 v1, 0, 1, s5
	v_dual_mov_b32 v4, s3 :: v_dual_mov_b32 v3, s2
	s_and_not1_b32 vcc_lo, exec_lo, s5
	s_cbranch_vccnz .LBB5_4
; %bb.3:
	v_dual_mov_b32 v2, s24 :: v_dual_mov_b32 v3, s25
	flat_load_b64 v[3:4], v[2:3]
.LBB5_4:
	s_delay_alu instid0(VALU_DEP_2)
	v_cmp_ne_u32_e32 vcc_lo, 1, v1
	s_and_b32 s2, s4, exec_lo
	s_cselect_b32 s3, 0, s26
	s_mov_b32 s2, 0
	s_cbranch_vccnz .LBB5_6
; %bb.5:
	s_load_b32 s3, s[26:27], 0x0
.LBB5_6:
	v_lshrrev_b32_e32 v1, 5, v0
	v_and_b32_e32 v13, 31, v0
	s_delay_alu instid0(VALU_DEP_2) | instskip(NEXT) | instid1(VALU_DEP_2)
	v_lshlrev_b32_e32 v5, 11, v1
	v_lshlrev_b32_e32 v6, 2, v13
	s_delay_alu instid0(VALU_DEP_1)
	v_or3_b32 v5, v5, v6, 0x4000
	v_mov_b32_e32 v6, -1
	v_or_b32_e32 v2, 0xffffffe0, v13
.LBB5_7:                                ; =>This Inner Loop Header: Depth=1
	s_delay_alu instid0(VALU_DEP_1)
	v_add_nc_u32_e32 v2, 32, v2
	ds_store_b32 v5, v6
	v_add_nc_u32_e32 v5, 0x80, v5
	v_cmp_lt_u32_e32 vcc_lo, 0x1df, v2
	s_wait_alu 0xfffe
	s_or_b32 s2, vcc_lo, s2
	s_wait_alu 0xfffe
	s_and_not1_b32 exec_lo, exec_lo, s2
	s_cbranch_execnz .LBB5_7
; %bb.8:
	s_or_b32 exec_lo, exec_lo, s2
	s_load_b32 s2, s[0:1], 0x0
	s_lshl_b32 s4, ttmp9, 3
	s_wait_loadcnt_dscnt 0x0
	global_inv scope:SCOPE_SE
	s_wait_alu 0xfffe
	v_and_or_b32 v1, 0x7fffff8, s4, v1
	s_wait_kmcnt 0x0
	s_delay_alu instid0(VALU_DEP_1)
	v_cmp_gt_i32_e32 vcc_lo, s2, v1
	s_and_saveexec_b32 s2, vcc_lo
	s_cbranch_execz .LBB5_80
; %bb.9:
	s_load_b512 s[4:19], s[0:1], 0x8
	v_lshlrev_b32_e32 v1, 2, v1
	v_lshlrev_b32_e32 v0, 6, v0
	s_mov_b32 s2, exec_lo
	s_delay_alu instid0(VALU_DEP_1) | instskip(NEXT) | instid1(VALU_DEP_1)
	v_and_b32_e32 v0, 0x3800, v0
	v_or_b32_e32 v14, 0x4000, v0
	s_wait_kmcnt 0x0
	global_load_b32 v5, v1, s[14:15]
	s_wait_loadcnt 0x0
	v_ashrrev_i32_e32 v6, 31, v5
	s_delay_alu instid0(VALU_DEP_1) | instskip(NEXT) | instid1(VALU_DEP_1)
	v_lshlrev_b64_e32 v[1:2], 2, v[5:6]
	v_add_co_u32 v6, vcc_lo, s4, v1
	s_delay_alu instid0(VALU_DEP_1)
	v_add_co_ci_u32_e64 v7, null, s5, v2, vcc_lo
	v_add_co_u32 v9, vcc_lo, s10, v1
	s_wait_alu 0xfffd
	v_add_co_ci_u32_e64 v10, null, s11, v2, vcc_lo
	global_load_b64 v[7:8], v[6:7], off
	global_load_b32 v6, v[9:10], off
	s_wait_loadcnt 0x1
	v_subrev_nc_u32_e32 v7, s28, v7
	v_subrev_nc_u32_e32 v10, s28, v8
	s_delay_alu instid0(VALU_DEP_2) | instskip(NEXT) | instid1(VALU_DEP_1)
	v_add_nc_u32_e32 v8, v7, v13
	v_cmpx_lt_i32_e64 v8, v10
	s_cbranch_execz .LBB5_32
; %bb.10:
	v_mov_b32_e32 v11, -1
	s_mov_b32 s14, 0
	s_branch .LBB5_12
.LBB5_11:                               ;   in Loop: Header=BB5_12 Depth=1
	s_or_b32 exec_lo, exec_lo, s15
	v_add_nc_u32_e32 v8, 32, v8
	s_delay_alu instid0(VALU_DEP_1) | instskip(SKIP_1) | instid1(SALU_CYCLE_1)
	v_cmp_ge_i32_e32 vcc_lo, v8, v10
	s_or_b32 s14, vcc_lo, s14
	s_and_not1_b32 exec_lo, exec_lo, s14
	s_cbranch_execz .LBB5_32
.LBB5_12:                               ; =>This Loop Header: Depth=1
                                        ;     Child Loop BB5_21 Depth 2
	v_ashrrev_i32_e32 v9, 31, v8
	v_mov_b32_e32 v12, 0x200
	s_mov_b32 s15, 0
                                        ; implicit-def: $sgpr22
                                        ; implicit-def: $sgpr23
                                        ; implicit-def: $sgpr24
	s_delay_alu instid0(VALU_DEP_2) | instskip(NEXT) | instid1(VALU_DEP_1)
	v_lshlrev_b64_e32 v[15:16], 2, v[8:9]
	v_add_co_u32 v15, vcc_lo, s6, v15
	s_wait_alu 0xfffd
	s_delay_alu instid0(VALU_DEP_2)
	v_add_co_ci_u32_e64 v16, null, s7, v16, vcc_lo
	global_load_b32 v9, v[15:16], off
	s_wait_loadcnt 0x0
	v_mul_lo_u32 v16, 0x67, v9
	s_branch .LBB5_21
.LBB5_13:                               ;   in Loop: Header=BB5_21 Depth=2
	s_or_b32 exec_lo, exec_lo, s38
	s_delay_alu instid0(SALU_CYCLE_1)
	s_or_not1_b32 s36, s36, exec_lo
	s_or_not1_b32 s37, s37, exec_lo
.LBB5_14:                               ;   in Loop: Header=BB5_21 Depth=2
	s_or_b32 exec_lo, exec_lo, s35
	s_delay_alu instid0(SALU_CYCLE_1)
	s_and_b32 s36, s36, exec_lo
	s_or_not1_b32 s35, s37, exec_lo
.LBB5_15:                               ;   in Loop: Header=BB5_21 Depth=2
	s_or_b32 exec_lo, exec_lo, s34
	s_delay_alu instid0(SALU_CYCLE_1)
	s_or_not1_b32 s34, s36, exec_lo
	s_or_not1_b32 s35, s35, exec_lo
.LBB5_16:                               ;   in Loop: Header=BB5_21 Depth=2
	s_or_b32 exec_lo, exec_lo, s33
	s_delay_alu instid0(SALU_CYCLE_1)
	s_and_b32 s34, s34, exec_lo
	s_or_not1_b32 s33, s35, exec_lo
.LBB5_17:                               ;   in Loop: Header=BB5_21 Depth=2
	s_or_b32 exec_lo, exec_lo, s31
	s_delay_alu instid0(SALU_CYCLE_1)
	s_or_not1_b32 s31, s34, exec_lo
	s_or_not1_b32 s33, s33, exec_lo
.LBB5_18:                               ;   in Loop: Header=BB5_21 Depth=2
	s_or_b32 exec_lo, exec_lo, s27
	s_delay_alu instid0(SALU_CYCLE_1)
	s_and_b32 s31, s31, exec_lo
	s_or_not1_b32 s27, s33, exec_lo
.LBB5_19:                               ;   in Loop: Header=BB5_21 Depth=2
	s_or_b32 exec_lo, exec_lo, s26
	s_wait_alu 0xfffe
	s_and_not1_b32 s24, s24, exec_lo
	s_and_b32 s26, s31, exec_lo
	s_and_not1_b32 s23, s23, exec_lo
	s_and_b32 s27, s27, exec_lo
	s_wait_alu 0xfffe
	s_or_b32 s24, s24, s26
	s_or_b32 s23, s23, s27
.LBB5_20:                               ;   in Loop: Header=BB5_21 Depth=2
	s_wait_alu 0xfffe
	s_or_b32 exec_lo, exec_lo, s25
	s_delay_alu instid0(SALU_CYCLE_1)
	s_and_b32 s25, exec_lo, s23
	s_wait_alu 0xfffe
	s_or_b32 s15, s25, s15
	s_and_not1_b32 s22, s22, exec_lo
	s_and_b32 s25, s24, exec_lo
	s_wait_alu 0xfffe
	s_or_b32 s22, s22, s25
	s_and_not1_b32 exec_lo, exec_lo, s15
	s_cbranch_execz .LBB5_30
.LBB5_21:                               ;   Parent Loop BB5_12 Depth=1
                                        ; =>  This Inner Loop Header: Depth=2
	s_delay_alu instid0(VALU_DEP_1) | instskip(SKIP_3) | instid1(VALU_DEP_1)
	v_and_b32_e32 v15, 0x1ff, v16
	s_or_b32 s24, s24, exec_lo
	s_or_b32 s23, s23, exec_lo
	s_mov_b32 s25, exec_lo
	v_lshl_add_u32 v17, v15, 2, v14
	ds_load_b32 v18, v17
	s_wait_dscnt 0x0
	v_cmpx_ne_u32_e64 v18, v9
	s_cbranch_execz .LBB5_20
; %bb.22:                               ;   in Loop: Header=BB5_21 Depth=2
	ds_cmpstore_rtn_b32 v17, v17, v9, v11
	s_mov_b32 s27, -1
	s_mov_b32 s31, 0
	s_mov_b32 s26, exec_lo
	s_wait_dscnt 0x0
	v_cmpx_ne_u32_e32 -1, v17
	s_cbranch_execz .LBB5_19
; %bb.23:                               ;   in Loop: Header=BB5_21 Depth=2
	v_add_nc_u32_e32 v15, 1, v16
	s_mov_b32 s33, -1
	s_mov_b32 s31, -1
	s_mov_b32 s27, exec_lo
	s_delay_alu instid0(VALU_DEP_1) | instskip(NEXT) | instid1(VALU_DEP_1)
	v_and_b32_e32 v15, 0x1ff, v15
	v_lshl_add_u32 v17, v15, 2, v14
	ds_load_b32 v18, v17
	s_wait_dscnt 0x0
	v_cmpx_ne_u32_e64 v18, v9
	s_cbranch_execz .LBB5_18
; %bb.24:                               ;   in Loop: Header=BB5_21 Depth=2
	ds_cmpstore_rtn_b32 v17, v17, v9, v11
	s_mov_b32 s34, 0
	s_mov_b32 s31, exec_lo
	s_wait_dscnt 0x0
	v_cmpx_ne_u32_e32 -1, v17
	s_cbranch_execz .LBB5_17
; %bb.25:                               ;   in Loop: Header=BB5_21 Depth=2
	v_add_nc_u32_e32 v15, 2, v16
	s_mov_b32 s35, -1
	s_mov_b32 s34, -1
	s_mov_b32 s33, exec_lo
	s_delay_alu instid0(VALU_DEP_1) | instskip(NEXT) | instid1(VALU_DEP_1)
	v_and_b32_e32 v15, 0x1ff, v15
	v_lshl_add_u32 v17, v15, 2, v14
	ds_load_b32 v18, v17
	s_wait_dscnt 0x0
	v_cmpx_ne_u32_e64 v18, v9
	s_cbranch_execz .LBB5_16
; %bb.26:                               ;   in Loop: Header=BB5_21 Depth=2
	ds_cmpstore_rtn_b32 v17, v17, v9, v11
	s_mov_b32 s36, 0
	s_mov_b32 s34, exec_lo
	s_wait_dscnt 0x0
	v_cmpx_ne_u32_e32 -1, v17
	s_cbranch_execz .LBB5_15
; %bb.27:                               ;   in Loop: Header=BB5_21 Depth=2
	v_add_nc_u32_e32 v15, 3, v16
	s_mov_b32 s37, -1
	s_mov_b32 s36, -1
	s_delay_alu instid0(VALU_DEP_1) | instskip(NEXT) | instid1(VALU_DEP_1)
	v_and_b32_e32 v15, 0x1ff, v15
	v_lshl_add_u32 v17, v15, 2, v14
	ds_load_b32 v16, v17
	s_wait_dscnt 0x0
	v_cmp_ne_u32_e32 vcc_lo, v16, v9
                                        ; implicit-def: $vgpr16
	s_and_saveexec_b32 s35, vcc_lo
	s_cbranch_execz .LBB5_14
; %bb.28:                               ;   in Loop: Header=BB5_21 Depth=2
	ds_cmpstore_rtn_b32 v16, v17, v9, v11
	s_mov_b32 s36, 0
	s_wait_dscnt 0x0
	v_cmp_ne_u32_e32 vcc_lo, -1, v16
                                        ; implicit-def: $vgpr16
	s_and_saveexec_b32 s38, vcc_lo
	s_cbranch_execz .LBB5_13
; %bb.29:                               ;   in Loop: Header=BB5_21 Depth=2
	v_add_nc_u32_e32 v12, -4, v12
	v_add_nc_u32_e32 v16, 1, v15
	s_mov_b32 s36, exec_lo
	s_delay_alu instid0(VALU_DEP_2)
	v_cmp_eq_u32_e32 vcc_lo, 0, v12
	s_or_not1_b32 s37, vcc_lo, exec_lo
	s_branch .LBB5_13
.LBB5_30:                               ;   in Loop: Header=BB5_12 Depth=1
	s_or_b32 exec_lo, exec_lo, s15
	s_xor_b32 s15, s22, -1
	s_delay_alu instid0(SALU_CYCLE_1) | instskip(NEXT) | instid1(SALU_CYCLE_1)
	s_and_saveexec_b32 s22, s15
	s_xor_b32 s15, exec_lo, s22
	s_cbranch_execz .LBB5_11
; %bb.31:                               ;   in Loop: Header=BB5_12 Depth=1
	v_lshl_add_u32 v9, v15, 2, v0
	ds_store_b32 v9, v8
	s_branch .LBB5_11
.LBB5_32:
	s_wait_alu 0xfffe
	s_or_b32 exec_lo, exec_lo, s2
	s_delay_alu instid0(SALU_CYCLE_1)
	s_mov_b32 s2, exec_lo
	s_wait_loadcnt_dscnt 0x0
	global_inv scope:SCOPE_SE
	v_cmpx_lt_i32_e64 v7, v6
	s_cbranch_execz .LBB5_62
; %bb.33:
	v_add_nc_u32_e32 v15, 1, v13
	s_mov_b32 s14, 0
	s_branch .LBB5_36
.LBB5_34:                               ;   in Loop: Header=BB5_36 Depth=1
	s_or_b32 exec_lo, exec_lo, s22
	v_add_nc_u32_e32 v7, 1, v7
	s_delay_alu instid0(VALU_DEP_1)
	v_cmp_ge_i32_e32 vcc_lo, v7, v6
	s_or_not1_b32 s22, vcc_lo, exec_lo
.LBB5_35:                               ;   in Loop: Header=BB5_36 Depth=1
	s_or_b32 exec_lo, exec_lo, s15
	s_delay_alu instid0(SALU_CYCLE_1) | instskip(NEXT) | instid1(SALU_CYCLE_1)
	s_and_b32 s15, exec_lo, s22
	s_or_b32 s14, s15, s14
	s_delay_alu instid0(SALU_CYCLE_1)
	s_and_not1_b32 exec_lo, exec_lo, s14
	s_cbranch_execz .LBB5_62
.LBB5_36:                               ; =>This Loop Header: Depth=1
                                        ;     Child Loop BB5_37 Depth 2
                                        ;     Child Loop BB5_42 Depth 2
                                        ;       Child Loop BB5_51 Depth 3
	v_ashrrev_i32_e32 v8, 31, v7
	s_mov_b32 s15, 0
	s_delay_alu instid0(VALU_DEP_1) | instskip(NEXT) | instid1(VALU_DEP_1)
	v_lshlrev_b64_e32 v[9:10], 2, v[7:8]
	v_add_co_u32 v11, vcc_lo, s6, v9
	s_wait_alu 0xfffd
	s_delay_alu instid0(VALU_DEP_2)
	v_add_co_ci_u32_e64 v12, null, s7, v10, vcc_lo
	v_add_co_u32 v9, vcc_lo, s8, v9
	s_wait_alu 0xfffd
	v_add_co_ci_u32_e64 v10, null, s9, v10, vcc_lo
	global_load_b32 v8, v[11:12], off
	s_wait_loadcnt 0x0
	v_subrev_nc_u32_e32 v11, s28, v8
	s_delay_alu instid0(VALU_DEP_1) | instskip(NEXT) | instid1(VALU_DEP_1)
	v_ashrrev_i32_e32 v12, 31, v11
	v_lshlrev_b64_e32 v[11:12], 2, v[11:12]
	s_delay_alu instid0(VALU_DEP_1) | instskip(SKIP_1) | instid1(VALU_DEP_2)
	v_add_co_u32 v18, vcc_lo, s4, v11
	s_wait_alu 0xfffd
	v_add_co_ci_u32_e64 v19, null, s5, v12, vcc_lo
	v_add_co_u32 v20, vcc_lo, s10, v11
	s_wait_alu 0xfffd
	v_add_co_ci_u32_e64 v21, null, s11, v12, vcc_lo
	global_load_b32 v17, v[9:10], off
	global_load_b32 v8, v[18:19], off offset:4
	global_load_b32 v18, v[20:21], off
	v_add_co_u32 v11, vcc_lo, s12, v11
	s_wait_alu 0xfffd
	v_add_co_ci_u32_e64 v12, null, s13, v12, vcc_lo
.LBB5_37:                               ;   Parent Loop BB5_36 Depth=1
                                        ; =>  This Inner Loop Header: Depth=2
	global_load_b32 v16, v[11:12], off scope:SCOPE_DEV
	s_wait_loadcnt 0x0
	v_cmp_ne_u32_e32 vcc_lo, 0, v16
	s_or_b32 s15, vcc_lo, s15
	s_delay_alu instid0(SALU_CYCLE_1)
	s_and_not1_b32 exec_lo, exec_lo, s15
	s_cbranch_execnz .LBB5_37
; %bb.38:                               ;   in Loop: Header=BB5_36 Depth=1
	s_or_b32 exec_lo, exec_lo, s15
	v_subrev_nc_u32_e32 v16, s28, v8
	v_cmp_eq_u32_e32 vcc_lo, -1, v18
	global_inv scope:SCOPE_DEV
	s_mov_b32 s22, -1
	s_mov_b32 s15, exec_lo
	v_add_nc_u32_e32 v8, -1, v16
	s_wait_alu 0xfffd
	s_delay_alu instid0(VALU_DEP_1) | instskip(NEXT) | instid1(VALU_DEP_1)
	v_cndmask_b32_e32 v11, v18, v8, vcc_lo
	v_ashrrev_i32_e32 v12, 31, v11
	s_delay_alu instid0(VALU_DEP_1) | instskip(NEXT) | instid1(VALU_DEP_1)
	v_lshlrev_b64_e32 v[18:19], 2, v[11:12]
	v_add_co_u32 v18, vcc_lo, s8, v18
	s_wait_alu 0xfffd
	s_delay_alu instid0(VALU_DEP_2)
	v_add_co_ci_u32_e64 v19, null, s9, v19, vcc_lo
	global_load_b32 v12, v[18:19], off
	s_wait_loadcnt 0x0
	v_cmpx_neq_f32_e32 0, v12
	s_cbranch_execz .LBB5_35
; %bb.39:                               ;   in Loop: Header=BB5_36 Depth=1
	v_div_scale_f32 v8, null, v12, v12, v17
	s_mov_b32 s22, exec_lo
	v_rcp_f32_e32 v18, v8
	s_delay_alu instid0(TRANS32_DEP_1) | instskip(NEXT) | instid1(VALU_DEP_1)
	v_fma_f32 v19, -v8, v18, 1.0
	v_fmac_f32_e32 v18, v19, v18
	v_div_scale_f32 v19, vcc_lo, v17, v12, v17
	s_delay_alu instid0(VALU_DEP_1) | instskip(NEXT) | instid1(VALU_DEP_1)
	v_mul_f32_e32 v20, v19, v18
	v_fma_f32 v21, -v8, v20, v19
	s_delay_alu instid0(VALU_DEP_1) | instskip(NEXT) | instid1(VALU_DEP_1)
	v_fmac_f32_e32 v20, v21, v18
	v_fma_f32 v8, -v8, v20, v19
	s_wait_alu 0xfffd
	s_delay_alu instid0(VALU_DEP_1) | instskip(SKIP_1) | instid1(VALU_DEP_2)
	v_div_fmas_f32 v18, v8, v18, v20
	v_add_nc_u32_e32 v8, v15, v11
	v_div_fixup_f32 v11, v18, v12, v17
	global_store_b32 v[9:10], v11, off
	v_cmpx_lt_i32_e64 v8, v16
	s_cbranch_execz .LBB5_34
; %bb.40:                               ;   in Loop: Header=BB5_36 Depth=1
	s_mov_b32 s23, 0
	s_branch .LBB5_42
.LBB5_41:                               ;   in Loop: Header=BB5_42 Depth=2
	s_wait_alu 0xfffe
	s_or_b32 exec_lo, exec_lo, s24
	v_add_nc_u32_e32 v8, 32, v8
	s_delay_alu instid0(VALU_DEP_1) | instskip(SKIP_1) | instid1(SALU_CYCLE_1)
	v_cmp_ge_i32_e32 vcc_lo, v8, v16
	s_or_b32 s23, vcc_lo, s23
	s_and_not1_b32 exec_lo, exec_lo, s23
	s_cbranch_execz .LBB5_34
.LBB5_42:                               ;   Parent Loop BB5_36 Depth=1
                                        ; =>  This Loop Header: Depth=2
                                        ;       Child Loop BB5_51 Depth 3
	v_ashrrev_i32_e32 v9, 31, v8
	s_mov_b32 s24, 0
                                        ; implicit-def: $sgpr25
                                        ; implicit-def: $sgpr26
                                        ; implicit-def: $sgpr27
	s_delay_alu instid0(VALU_DEP_1) | instskip(NEXT) | instid1(VALU_DEP_1)
	v_lshlrev_b64_e32 v[9:10], 2, v[8:9]
	v_add_co_u32 v17, vcc_lo, s6, v9
	s_wait_alu 0xfffd
	s_delay_alu instid0(VALU_DEP_2)
	v_add_co_ci_u32_e64 v18, null, s7, v10, vcc_lo
	global_load_b32 v12, v[17:18], off
	v_mov_b32_e32 v17, 0x200
	s_wait_loadcnt 0x0
	v_mul_lo_u32 v19, 0x67, v12
	s_branch .LBB5_51
.LBB5_43:                               ;   in Loop: Header=BB5_51 Depth=3
	s_or_b32 exec_lo, exec_lo, s41
	s_delay_alu instid0(SALU_CYCLE_1)
	s_or_not1_b32 s39, s39, exec_lo
	s_or_not1_b32 s40, s40, exec_lo
.LBB5_44:                               ;   in Loop: Header=BB5_51 Depth=3
	s_or_b32 exec_lo, exec_lo, s38
	s_delay_alu instid0(SALU_CYCLE_1)
	s_and_b32 s39, s39, exec_lo
	s_or_not1_b32 s38, s40, exec_lo
.LBB5_45:                               ;   in Loop: Header=BB5_51 Depth=3
	s_or_b32 exec_lo, exec_lo, s37
	s_delay_alu instid0(SALU_CYCLE_1)
	s_or_not1_b32 s37, s39, exec_lo
	s_or_not1_b32 s38, s38, exec_lo
.LBB5_46:                               ;   in Loop: Header=BB5_51 Depth=3
	s_or_b32 exec_lo, exec_lo, s36
	s_delay_alu instid0(SALU_CYCLE_1)
	s_and_b32 s37, s37, exec_lo
	s_or_not1_b32 s36, s38, exec_lo
.LBB5_47:                               ;   in Loop: Header=BB5_51 Depth=3
	s_or_b32 exec_lo, exec_lo, s35
	s_delay_alu instid0(SALU_CYCLE_1)
	s_or_not1_b32 s35, s37, exec_lo
	s_or_not1_b32 s36, s36, exec_lo
.LBB5_48:                               ;   in Loop: Header=BB5_51 Depth=3
	s_or_b32 exec_lo, exec_lo, s34
	s_delay_alu instid0(SALU_CYCLE_1)
	s_and_b32 s35, s35, exec_lo
	s_or_not1_b32 s34, s36, exec_lo
.LBB5_49:                               ;   in Loop: Header=BB5_51 Depth=3
	s_or_b32 exec_lo, exec_lo, s33
	s_delay_alu instid0(SALU_CYCLE_1)
	s_and_not1_b32 s27, s27, exec_lo
	s_and_b32 s33, s35, exec_lo
	s_and_not1_b32 s26, s26, exec_lo
	s_and_b32 s34, s34, exec_lo
	s_or_b32 s27, s27, s33
	s_or_b32 s26, s26, s34
.LBB5_50:                               ;   in Loop: Header=BB5_51 Depth=3
	s_or_b32 exec_lo, exec_lo, s31
	s_delay_alu instid0(SALU_CYCLE_1)
	s_and_b32 s31, exec_lo, s26
	s_wait_alu 0xfffe
	s_or_b32 s24, s31, s24
	s_and_not1_b32 s25, s25, exec_lo
	s_and_b32 s31, s27, exec_lo
	s_wait_alu 0xfffe
	s_or_b32 s25, s25, s31
	s_and_not1_b32 exec_lo, exec_lo, s24
	s_cbranch_execz .LBB5_60
.LBB5_51:                               ;   Parent Loop BB5_36 Depth=1
                                        ;     Parent Loop BB5_42 Depth=2
                                        ; =>    This Inner Loop Header: Depth=3
	s_delay_alu instid0(VALU_DEP_1) | instskip(SKIP_3) | instid1(VALU_DEP_1)
	v_and_b32_e32 v18, 0x1ff, v19
	s_or_b32 s27, s27, exec_lo
	s_or_b32 s26, s26, exec_lo
	s_mov_b32 s31, exec_lo
	v_lshl_add_u32 v20, v18, 2, v14
	ds_load_b32 v20, v20
	s_wait_dscnt 0x0
	v_cmpx_ne_u32_e32 -1, v20
	s_cbranch_execz .LBB5_50
; %bb.52:                               ;   in Loop: Header=BB5_51 Depth=3
	s_mov_b32 s34, -1
	s_mov_b32 s35, 0
	s_mov_b32 s33, exec_lo
	v_cmpx_ne_u32_e64 v20, v12
	s_cbranch_execz .LBB5_49
; %bb.53:                               ;   in Loop: Header=BB5_51 Depth=3
	v_add_nc_u32_e32 v18, 1, v19
	s_mov_b32 s36, -1
	s_mov_b32 s35, -1
	s_mov_b32 s34, exec_lo
	s_delay_alu instid0(VALU_DEP_1) | instskip(NEXT) | instid1(VALU_DEP_1)
	v_and_b32_e32 v18, 0x1ff, v18
	v_lshl_add_u32 v20, v18, 2, v14
	ds_load_b32 v20, v20
	s_wait_dscnt 0x0
	v_cmpx_ne_u32_e32 -1, v20
	s_cbranch_execz .LBB5_48
; %bb.54:                               ;   in Loop: Header=BB5_51 Depth=3
	s_mov_b32 s37, 0
	s_mov_b32 s35, exec_lo
	v_cmpx_ne_u32_e64 v20, v12
	s_cbranch_execz .LBB5_47
; %bb.55:                               ;   in Loop: Header=BB5_51 Depth=3
	v_add_nc_u32_e32 v18, 2, v19
	s_mov_b32 s38, -1
	s_mov_b32 s37, -1
	s_mov_b32 s36, exec_lo
	s_delay_alu instid0(VALU_DEP_1) | instskip(NEXT) | instid1(VALU_DEP_1)
	v_and_b32_e32 v18, 0x1ff, v18
	v_lshl_add_u32 v20, v18, 2, v14
	ds_load_b32 v20, v20
	s_wait_dscnt 0x0
	v_cmpx_ne_u32_e32 -1, v20
	s_cbranch_execz .LBB5_46
; %bb.56:                               ;   in Loop: Header=BB5_51 Depth=3
	s_mov_b32 s39, 0
	s_mov_b32 s37, exec_lo
	v_cmpx_ne_u32_e64 v20, v12
	s_cbranch_execz .LBB5_45
; %bb.57:                               ;   in Loop: Header=BB5_51 Depth=3
	v_add_nc_u32_e32 v18, 3, v19
	s_mov_b32 s40, -1
	s_mov_b32 s39, -1
	s_mov_b32 s38, exec_lo
	s_delay_alu instid0(VALU_DEP_1) | instskip(NEXT) | instid1(VALU_DEP_1)
	v_and_b32_e32 v18, 0x1ff, v18
	v_lshl_add_u32 v19, v18, 2, v14
	ds_load_b32 v20, v19
                                        ; implicit-def: $vgpr19
	s_wait_dscnt 0x0
	v_cmpx_ne_u32_e32 -1, v20
	s_cbranch_execz .LBB5_44
; %bb.58:                               ;   in Loop: Header=BB5_51 Depth=3
	s_mov_b32 s39, 0
	s_mov_b32 s41, exec_lo
                                        ; implicit-def: $vgpr19
	v_cmpx_ne_u32_e64 v20, v12
	s_cbranch_execz .LBB5_43
; %bb.59:                               ;   in Loop: Header=BB5_51 Depth=3
	v_add_nc_u32_e32 v17, -4, v17
	v_add_nc_u32_e32 v19, 1, v18
	s_mov_b32 s39, exec_lo
	s_delay_alu instid0(VALU_DEP_2)
	v_cmp_eq_u32_e32 vcc_lo, 0, v17
	s_or_not1_b32 s40, vcc_lo, exec_lo
	s_branch .LBB5_43
.LBB5_60:                               ;   in Loop: Header=BB5_42 Depth=2
	s_or_b32 exec_lo, exec_lo, s24
	s_wait_alu 0xfffe
	s_xor_b32 s24, s25, -1
	s_wait_alu 0xfffe
	s_and_saveexec_b32 s25, s24
	s_wait_alu 0xfffe
	s_xor_b32 s24, exec_lo, s25
	s_cbranch_execz .LBB5_41
; %bb.61:                               ;   in Loop: Header=BB5_42 Depth=2
	v_lshl_add_u32 v12, v18, 2, v0
	v_add_co_u32 v9, vcc_lo, s8, v9
	s_wait_alu 0xfffd
	v_add_co_ci_u32_e64 v10, null, s9, v10, vcc_lo
	ds_load_b32 v17, v12
	s_wait_dscnt 0x0
	v_ashrrev_i32_e32 v18, 31, v17
	s_delay_alu instid0(VALU_DEP_1) | instskip(NEXT) | instid1(VALU_DEP_1)
	v_lshlrev_b64_e32 v[17:18], 2, v[17:18]
	v_add_co_u32 v17, vcc_lo, s8, v17
	s_wait_alu 0xfffd
	s_delay_alu instid0(VALU_DEP_2)
	v_add_co_ci_u32_e64 v18, null, s9, v18, vcc_lo
	s_clause 0x1
	global_load_b32 v9, v[9:10], off
	global_load_b32 v10, v[17:18], off
	s_wait_loadcnt 0x0
	v_fma_f32 v9, -v11, v9, v10
	global_store_b32 v[17:18], v9, off
	s_branch .LBB5_41
.LBB5_62:
	s_wait_alu 0xfffe
	s_or_b32 exec_lo, exec_lo, s2
	s_mov_b32 s5, -1
	s_mov_b32 s4, exec_lo
	s_wait_loadcnt 0x0
	s_wait_storecnt 0x0
	global_inv scope:SCOPE_SE
	v_cmpx_lt_i32_e32 -1, v6
	s_cbranch_execz .LBB5_78
; %bb.63:
	v_mov_b32_e32 v7, 0
	v_cmp_eq_u32_e64 s2, 0, v13
	s_delay_alu instid0(VALU_DEP_2) | instskip(NEXT) | instid1(VALU_DEP_1)
	v_lshlrev_b64_e32 v[6:7], 2, v[6:7]
	v_add_co_u32 v8, vcc_lo, s8, v6
	s_wait_alu 0xfffd
	s_delay_alu instid0(VALU_DEP_2)
	v_add_co_ci_u32_e64 v9, null, s9, v7, vcc_lo
	global_load_b32 v0, v[8:9], off
	s_wait_loadcnt 0x0
	v_cmp_gt_f32_e32 vcc_lo, 0, v0
	s_wait_alu 0xfffd
	v_cndmask_b32_e64 v6, v0, -v0, vcc_lo
	s_and_not1_b32 vcc_lo, exec_lo, s29
	s_delay_alu instid0(VALU_DEP_1)
	v_cvt_f64_f32_e32 v[6:7], v6
	s_wait_alu 0xfffe
	s_cbranch_vccnz .LBB5_67
; %bb.64:
	v_cvt_f64_f32_e32 v[10:11], s30
	s_cmp_eq_u64 s[20:21], 8
	s_cselect_b32 vcc_lo, -1, 0
	s_wait_alu 0xfffe
	s_delay_alu instid0(VALU_DEP_1) | instskip(NEXT) | instid1(VALU_DEP_1)
	v_dual_cndmask_b32 v4, v11, v4 :: v_dual_cndmask_b32 v3, v10, v3
	v_cmp_ge_f64_e32 vcc_lo, v[3:4], v[6:7]
	s_and_b32 s6, s2, vcc_lo
	s_wait_alu 0xfffe
	s_and_saveexec_b32 s5, s6
	s_cbranch_execz .LBB5_66
; %bb.65:
	v_mov_b32_e32 v3, s3
	global_store_b32 v[8:9], v3, off
	s_wait_storecnt 0x0
	global_inv scope:SCOPE_DEV
.LBB5_66:
	s_wait_alu 0xfffe
	s_or_b32 exec_lo, exec_lo, s5
	s_mov_b32 s5, 0
.LBB5_67:
	s_wait_alu 0xfffe
	s_and_not1_b32 vcc_lo, exec_lo, s5
	s_wait_alu 0xfffe
	s_cbranch_vccnz .LBB5_78
; %bb.68:
	s_load_b64 s[0:1], s[0:1], 0x48
	v_add_nc_u32_e32 v3, s28, v5
	s_wait_kmcnt 0x0
	s_delay_alu instid0(VALU_DEP_2)
	v_cmp_ge_f64_e32 vcc_lo, s[0:1], v[6:7]
	s_and_b32 s1, s2, vcc_lo
	s_wait_alu 0xfffe
	s_and_saveexec_b32 s0, s1
	s_cbranch_execz .LBB5_73
; %bb.69:
	s_mov_b32 s3, exec_lo
	s_brev_b32 s1, -2
.LBB5_70:                               ; =>This Inner Loop Header: Depth=1
	s_wait_alu 0xfffe
	s_ctz_i32_b32 s5, s3
	s_wait_alu 0xfffe
	v_readlane_b32 s6, v3, s5
	s_lshl_b32 s5, 1, s5
	s_wait_alu 0xfffe
	s_and_not1_b32 s3, s3, s5
	s_min_i32 s1, s1, s6
	s_wait_alu 0xfffe
	s_cmp_lg_u32 s3, 0
	s_cbranch_scc1 .LBB5_70
; %bb.71:
	v_mbcnt_lo_u32_b32 v4, exec_lo, 0
	s_mov_b32 s3, exec_lo
	s_delay_alu instid0(VALU_DEP_1)
	v_cmpx_eq_u32_e32 0, v4
	s_wait_alu 0xfffe
	s_xor_b32 s3, exec_lo, s3
	s_cbranch_execz .LBB5_73
; %bb.72:
	v_dual_mov_b32 v4, 0 :: v_dual_mov_b32 v5, s1
	global_atomic_min_i32 v4, v5, s[18:19] scope:SCOPE_DEV
.LBB5_73:
	s_wait_alu 0xfffe
	s_or_b32 exec_lo, exec_lo, s0
	v_cmp_eq_f32_e32 vcc_lo, 0, v0
	s_and_b32 s0, s2, vcc_lo
	s_wait_alu 0xfffe
	s_and_b32 exec_lo, exec_lo, s0
	s_cbranch_execz .LBB5_78
; %bb.74:
	s_mov_b32 s1, exec_lo
	s_brev_b32 s0, -2
.LBB5_75:                               ; =>This Inner Loop Header: Depth=1
	s_wait_alu 0xfffe
	s_ctz_i32_b32 s2, s1
	s_wait_alu 0xfffe
	v_readlane_b32 s3, v3, s2
	s_lshl_b32 s2, 1, s2
	s_wait_alu 0xfffe
	s_and_not1_b32 s1, s1, s2
	s_min_i32 s0, s0, s3
	s_wait_alu 0xfffe
	s_cmp_lg_u32 s1, 0
	s_cbranch_scc1 .LBB5_75
; %bb.76:
	v_mbcnt_lo_u32_b32 v0, exec_lo, 0
	s_mov_b32 s1, exec_lo
	s_delay_alu instid0(VALU_DEP_1)
	v_cmpx_eq_u32_e32 0, v0
	s_wait_alu 0xfffe
	s_xor_b32 s1, exec_lo, s1
	s_cbranch_execz .LBB5_78
; %bb.77:
	v_dual_mov_b32 v0, 0 :: v_dual_mov_b32 v3, s0
	global_atomic_min_i32 v0, v3, s[16:17] scope:SCOPE_DEV
.LBB5_78:
	s_wait_alu 0xfffe
	s_or_b32 exec_lo, exec_lo, s4
	v_cmp_eq_u32_e32 vcc_lo, 0, v13
	s_wait_loadcnt 0x0
	s_wait_storecnt 0x0
	global_inv scope:SCOPE_DEV
	s_and_b32 exec_lo, exec_lo, vcc_lo
	s_cbranch_execz .LBB5_80
; %bb.79:
	v_add_co_u32 v0, vcc_lo, s12, v1
	s_wait_alu 0xfffd
	v_add_co_ci_u32_e64 v1, null, s13, v2, vcc_lo
	v_mov_b32_e32 v2, 1
	s_wait_loadcnt 0x0
	global_store_b32 v[0:1], v2, off scope:SCOPE_DEV
.LBB5_80:
	s_endpgm
	.section	.rodata,"a",@progbits
	.p2align	6, 0x0
	.amdhsa_kernel _ZN9rocsparseL12csrilu0_hashILj256ELj32ELj16EfEEviPKiS2_PT2_S2_PiS2_S5_S5_d21rocsparse_index_base_imNS_24const_host_device_scalarIfEENS7_IdEENS7_IS3_EEb
		.amdhsa_group_segment_fixed_size 32768
		.amdhsa_private_segment_fixed_size 0
		.amdhsa_kernarg_size 124
		.amdhsa_user_sgpr_count 2
		.amdhsa_user_sgpr_dispatch_ptr 0
		.amdhsa_user_sgpr_queue_ptr 0
		.amdhsa_user_sgpr_kernarg_segment_ptr 1
		.amdhsa_user_sgpr_dispatch_id 0
		.amdhsa_user_sgpr_private_segment_size 0
		.amdhsa_wavefront_size32 1
		.amdhsa_uses_dynamic_stack 0
		.amdhsa_enable_private_segment 0
		.amdhsa_system_sgpr_workgroup_id_x 1
		.amdhsa_system_sgpr_workgroup_id_y 0
		.amdhsa_system_sgpr_workgroup_id_z 0
		.amdhsa_system_sgpr_workgroup_info 0
		.amdhsa_system_vgpr_workitem_id 0
		.amdhsa_next_free_vgpr 169
		.amdhsa_next_free_sgpr 42
		.amdhsa_reserve_vcc 1
		.amdhsa_float_round_mode_32 0
		.amdhsa_float_round_mode_16_64 0
		.amdhsa_float_denorm_mode_32 3
		.amdhsa_float_denorm_mode_16_64 3
		.amdhsa_fp16_overflow 0
		.amdhsa_workgroup_processor_mode 1
		.amdhsa_memory_ordered 1
		.amdhsa_forward_progress 1
		.amdhsa_inst_pref_size 26
		.amdhsa_round_robin_scheduling 0
		.amdhsa_exception_fp_ieee_invalid_op 0
		.amdhsa_exception_fp_denorm_src 0
		.amdhsa_exception_fp_ieee_div_zero 0
		.amdhsa_exception_fp_ieee_overflow 0
		.amdhsa_exception_fp_ieee_underflow 0
		.amdhsa_exception_fp_ieee_inexact 0
		.amdhsa_exception_int_div_zero 0
	.end_amdhsa_kernel
	.section	.text._ZN9rocsparseL12csrilu0_hashILj256ELj32ELj16EfEEviPKiS2_PT2_S2_PiS2_S5_S5_d21rocsparse_index_base_imNS_24const_host_device_scalarIfEENS7_IdEENS7_IS3_EEb,"axG",@progbits,_ZN9rocsparseL12csrilu0_hashILj256ELj32ELj16EfEEviPKiS2_PT2_S2_PiS2_S5_S5_d21rocsparse_index_base_imNS_24const_host_device_scalarIfEENS7_IdEENS7_IS3_EEb,comdat
.Lfunc_end5:
	.size	_ZN9rocsparseL12csrilu0_hashILj256ELj32ELj16EfEEviPKiS2_PT2_S2_PiS2_S5_S5_d21rocsparse_index_base_imNS_24const_host_device_scalarIfEENS7_IdEENS7_IS3_EEb, .Lfunc_end5-_ZN9rocsparseL12csrilu0_hashILj256ELj32ELj16EfEEviPKiS2_PT2_S2_PiS2_S5_S5_d21rocsparse_index_base_imNS_24const_host_device_scalarIfEENS7_IdEENS7_IS3_EEb
                                        ; -- End function
	.set _ZN9rocsparseL12csrilu0_hashILj256ELj32ELj16EfEEviPKiS2_PT2_S2_PiS2_S5_S5_d21rocsparse_index_base_imNS_24const_host_device_scalarIfEENS7_IdEENS7_IS3_EEb.num_vgpr, 22
	.set _ZN9rocsparseL12csrilu0_hashILj256ELj32ELj16EfEEviPKiS2_PT2_S2_PiS2_S5_S5_d21rocsparse_index_base_imNS_24const_host_device_scalarIfEENS7_IdEENS7_IS3_EEb.num_agpr, 0
	.set _ZN9rocsparseL12csrilu0_hashILj256ELj32ELj16EfEEviPKiS2_PT2_S2_PiS2_S5_S5_d21rocsparse_index_base_imNS_24const_host_device_scalarIfEENS7_IdEENS7_IS3_EEb.numbered_sgpr, 42
	.set _ZN9rocsparseL12csrilu0_hashILj256ELj32ELj16EfEEviPKiS2_PT2_S2_PiS2_S5_S5_d21rocsparse_index_base_imNS_24const_host_device_scalarIfEENS7_IdEENS7_IS3_EEb.num_named_barrier, 0
	.set _ZN9rocsparseL12csrilu0_hashILj256ELj32ELj16EfEEviPKiS2_PT2_S2_PiS2_S5_S5_d21rocsparse_index_base_imNS_24const_host_device_scalarIfEENS7_IdEENS7_IS3_EEb.private_seg_size, 0
	.set _ZN9rocsparseL12csrilu0_hashILj256ELj32ELj16EfEEviPKiS2_PT2_S2_PiS2_S5_S5_d21rocsparse_index_base_imNS_24const_host_device_scalarIfEENS7_IdEENS7_IS3_EEb.uses_vcc, 1
	.set _ZN9rocsparseL12csrilu0_hashILj256ELj32ELj16EfEEviPKiS2_PT2_S2_PiS2_S5_S5_d21rocsparse_index_base_imNS_24const_host_device_scalarIfEENS7_IdEENS7_IS3_EEb.uses_flat_scratch, 0
	.set _ZN9rocsparseL12csrilu0_hashILj256ELj32ELj16EfEEviPKiS2_PT2_S2_PiS2_S5_S5_d21rocsparse_index_base_imNS_24const_host_device_scalarIfEENS7_IdEENS7_IS3_EEb.has_dyn_sized_stack, 0
	.set _ZN9rocsparseL12csrilu0_hashILj256ELj32ELj16EfEEviPKiS2_PT2_S2_PiS2_S5_S5_d21rocsparse_index_base_imNS_24const_host_device_scalarIfEENS7_IdEENS7_IS3_EEb.has_recursion, 0
	.set _ZN9rocsparseL12csrilu0_hashILj256ELj32ELj16EfEEviPKiS2_PT2_S2_PiS2_S5_S5_d21rocsparse_index_base_imNS_24const_host_device_scalarIfEENS7_IdEENS7_IS3_EEb.has_indirect_call, 0
	.section	.AMDGPU.csdata,"",@progbits
; Kernel info:
; codeLenInByte = 3204
; TotalNumSgprs: 44
; NumVgprs: 22
; ScratchSize: 0
; MemoryBound: 0
; FloatMode: 240
; IeeeMode: 1
; LDSByteSize: 32768 bytes/workgroup (compile time only)
; SGPRBlocks: 0
; VGPRBlocks: 21
; NumSGPRsForWavesPerEU: 44
; NumVGPRsForWavesPerEU: 169
; Occupancy: 8
; WaveLimiterHint : 1
; COMPUTE_PGM_RSRC2:SCRATCH_EN: 0
; COMPUTE_PGM_RSRC2:USER_SGPR: 2
; COMPUTE_PGM_RSRC2:TRAP_HANDLER: 0
; COMPUTE_PGM_RSRC2:TGID_X_EN: 1
; COMPUTE_PGM_RSRC2:TGID_Y_EN: 0
; COMPUTE_PGM_RSRC2:TGID_Z_EN: 0
; COMPUTE_PGM_RSRC2:TIDIG_COMP_CNT: 0
	.section	.text._ZN9rocsparseL17csrilu0_binsearchILj256ELj32ELb0EfEEviPKiS2_PT2_S2_PiS2_S5_S5_d21rocsparse_index_base_imNS_24const_host_device_scalarIfEENS7_IdEENS7_IS3_EEb,"axG",@progbits,_ZN9rocsparseL17csrilu0_binsearchILj256ELj32ELb0EfEEviPKiS2_PT2_S2_PiS2_S5_S5_d21rocsparse_index_base_imNS_24const_host_device_scalarIfEENS7_IdEENS7_IS3_EEb,comdat
	.globl	_ZN9rocsparseL17csrilu0_binsearchILj256ELj32ELb0EfEEviPKiS2_PT2_S2_PiS2_S5_S5_d21rocsparse_index_base_imNS_24const_host_device_scalarIfEENS7_IdEENS7_IS3_EEb ; -- Begin function _ZN9rocsparseL17csrilu0_binsearchILj256ELj32ELb0EfEEviPKiS2_PT2_S2_PiS2_S5_S5_d21rocsparse_index_base_imNS_24const_host_device_scalarIfEENS7_IdEENS7_IS3_EEb
	.p2align	8
	.type	_ZN9rocsparseL17csrilu0_binsearchILj256ELj32ELb0EfEEviPKiS2_PT2_S2_PiS2_S5_S5_d21rocsparse_index_base_imNS_24const_host_device_scalarIfEENS7_IdEENS7_IS3_EEb,@function
_ZN9rocsparseL17csrilu0_binsearchILj256ELj32ELb0EfEEviPKiS2_PT2_S2_PiS2_S5_S5_d21rocsparse_index_base_imNS_24const_host_device_scalarIfEENS7_IdEENS7_IS3_EEb: ; @_ZN9rocsparseL17csrilu0_binsearchILj256ELj32ELb0EfEEviPKiS2_PT2_S2_PiS2_S5_S5_d21rocsparse_index_base_imNS_24const_host_device_scalarIfEENS7_IdEENS7_IS3_EEb
; %bb.0:
	s_clause 0x2
	s_load_b32 s2, s[0:1], 0x78
	s_load_b64 s[28:29], s[0:1], 0x50
	s_load_b256 s[20:27], s[0:1], 0x58
	s_wait_kmcnt 0x0
	s_bitcmp1_b32 s2, 0
	s_cselect_b32 s2, -1, 0
	s_cmp_eq_u32 s29, 0
	s_cselect_b32 s4, -1, 0
	s_cmp_lg_u32 s29, 0
	s_cselect_b32 s29, -1, 0
	s_or_b32 s6, s4, s2
	s_delay_alu instid0(SALU_CYCLE_1)
	s_xor_b32 s5, s6, -1
	s_and_b32 s2, s4, exec_lo
	s_cselect_b32 s3, 0, s25
	s_cselect_b32 s2, 0, s24
	;; [unrolled: 1-line block ×3, first 2 shown]
	s_and_b32 vcc_lo, exec_lo, s6
	s_cbranch_vccnz .LBB6_2
; %bb.1:
	s_load_b32 s30, s[22:23], 0x0
	s_mov_b64 s[2:3], s[24:25]
.LBB6_2:
	v_cndmask_b32_e64 v1, 0, 1, s5
	v_dual_mov_b32 v4, s3 :: v_dual_mov_b32 v3, s2
	s_and_not1_b32 vcc_lo, exec_lo, s5
	s_cbranch_vccnz .LBB6_4
; %bb.3:
	v_dual_mov_b32 v2, s24 :: v_dual_mov_b32 v3, s25
	flat_load_b64 v[3:4], v[2:3]
.LBB6_4:
	s_delay_alu instid0(VALU_DEP_2)
	v_cmp_ne_u32_e32 vcc_lo, 1, v1
	s_and_b32 s2, s4, exec_lo
	s_cselect_b32 s3, 0, s26
	s_cbranch_vccnz .LBB6_6
; %bb.5:
	s_load_b32 s3, s[26:27], 0x0
.LBB6_6:
	s_load_b32 s2, s[0:1], 0x0
	v_lshrrev_b32_e32 v1, 5, v0
	s_lshl_b32 s4, ttmp9, 3
	s_wait_alu 0xfffe
	s_delay_alu instid0(VALU_DEP_1) | instskip(SKIP_1) | instid1(VALU_DEP_1)
	v_and_or_b32 v1, 0x7fffff8, s4, v1
	s_wait_kmcnt 0x0
	v_cmp_gt_i32_e32 vcc_lo, s2, v1
	s_and_saveexec_b32 s2, vcc_lo
	s_cbranch_execz .LBB6_42
; %bb.7:
	s_load_b512 s[4:19], s[0:1], 0x8
	v_lshlrev_b32_e32 v1, 2, v1
	v_and_b32_e32 v0, 31, v0
	s_mov_b32 s2, exec_lo
	s_wait_kmcnt 0x0
	global_load_b32 v5, v1, s[14:15]
	s_wait_loadcnt 0x0
	v_ashrrev_i32_e32 v6, 31, v5
	s_delay_alu instid0(VALU_DEP_1) | instskip(NEXT) | instid1(VALU_DEP_1)
	v_lshlrev_b64_e32 v[1:2], 2, v[5:6]
	v_add_co_u32 v8, vcc_lo, s4, v1
	s_delay_alu instid0(VALU_DEP_1)
	v_add_co_ci_u32_e64 v9, null, s5, v2, vcc_lo
	v_add_co_u32 v6, vcc_lo, s10, v1
	s_wait_alu 0xfffd
	v_add_co_ci_u32_e64 v7, null, s11, v2, vcc_lo
	global_load_b32 v10, v[8:9], off
	global_load_b32 v6, v[6:7], off
	s_wait_loadcnt 0x1
	v_subrev_nc_u32_e32 v7, s28, v10
	s_wait_loadcnt 0x0
	s_delay_alu instid0(VALU_DEP_1)
	v_cmpx_lt_i32_e64 v7, v6
	s_cbranch_execz .LBB6_24
; %bb.8:
	global_load_b32 v8, v[8:9], off offset:4
	v_add_nc_u32_e32 v16, 1, v0
	s_mov_b32 s14, 0
	s_wait_loadcnt 0x0
	v_xad_u32 v17, s28, -1, v8
	s_branch .LBB6_11
.LBB6_9:                                ;   in Loop: Header=BB6_11 Depth=1
	s_or_b32 exec_lo, exec_lo, s22
	v_cmp_ge_i32_e32 vcc_lo, v7, v6
	s_or_not1_b32 s22, vcc_lo, exec_lo
.LBB6_10:                               ;   in Loop: Header=BB6_11 Depth=1
	s_or_b32 exec_lo, exec_lo, s15
	s_delay_alu instid0(SALU_CYCLE_1) | instskip(NEXT) | instid1(SALU_CYCLE_1)
	s_and_b32 s15, exec_lo, s22
	s_or_b32 s14, s15, s14
	s_delay_alu instid0(SALU_CYCLE_1)
	s_and_not1_b32 exec_lo, exec_lo, s14
	s_cbranch_execz .LBB6_24
.LBB6_11:                               ; =>This Loop Header: Depth=1
                                        ;     Child Loop BB6_13 Depth 2
                                        ;     Child Loop BB6_18 Depth 2
                                        ;       Child Loop BB6_20 Depth 3
	v_ashrrev_i32_e32 v8, 31, v7
	s_mov_b32 s15, exec_lo
	s_delay_alu instid0(VALU_DEP_1) | instskip(NEXT) | instid1(VALU_DEP_1)
	v_lshlrev_b64_e32 v[9:10], 2, v[7:8]
	v_add_co_u32 v11, vcc_lo, s6, v9
	s_wait_alu 0xfffd
	s_delay_alu instid0(VALU_DEP_2)
	v_add_co_ci_u32_e64 v12, null, s7, v10, vcc_lo
	v_add_co_u32 v9, vcc_lo, s8, v9
	s_wait_alu 0xfffd
	v_add_co_ci_u32_e64 v10, null, s9, v10, vcc_lo
	global_load_b32 v8, v[11:12], off
	s_wait_loadcnt 0x0
	v_subrev_nc_u32_e32 v11, s28, v8
	s_delay_alu instid0(VALU_DEP_1) | instskip(NEXT) | instid1(VALU_DEP_1)
	v_ashrrev_i32_e32 v12, 31, v11
	v_lshlrev_b64_e32 v[11:12], 2, v[11:12]
	s_delay_alu instid0(VALU_DEP_1) | instskip(SKIP_1) | instid1(VALU_DEP_2)
	v_add_co_u32 v14, vcc_lo, s4, v11
	s_wait_alu 0xfffd
	v_add_co_ci_u32_e64 v15, null, s5, v12, vcc_lo
	v_add_co_u32 v18, vcc_lo, s10, v11
	s_wait_alu 0xfffd
	v_add_co_ci_u32_e64 v19, null, s11, v12, vcc_lo
	;; [unrolled: 3-line block ×3, first 2 shown]
	global_load_b32 v13, v[9:10], off
	global_load_b32 v14, v[14:15], off offset:4
	global_load_b32 v8, v[18:19], off
	global_load_b32 v15, v[11:12], off scope:SCOPE_DEV
	s_wait_loadcnt 0x0
	v_cmpx_eq_u32_e32 0, v15
	s_cbranch_execz .LBB6_14
; %bb.12:                               ;   in Loop: Header=BB6_11 Depth=1
	s_mov_b32 s22, 0
.LBB6_13:                               ;   Parent Loop BB6_11 Depth=1
                                        ; =>  This Inner Loop Header: Depth=2
	global_load_b32 v15, v[11:12], off scope:SCOPE_DEV
	s_wait_loadcnt 0x0
	v_cmp_ne_u32_e32 vcc_lo, 0, v15
	s_or_b32 s22, vcc_lo, s22
	s_delay_alu instid0(SALU_CYCLE_1)
	s_and_not1_b32 exec_lo, exec_lo, s22
	s_cbranch_execnz .LBB6_13
.LBB6_14:                               ;   in Loop: Header=BB6_11 Depth=1
	s_or_b32 exec_lo, exec_lo, s15
	v_subrev_nc_u32_e32 v18, s28, v14
	v_cmp_eq_u32_e32 vcc_lo, -1, v8
	s_wait_dscnt 0x0
	global_inv scope:SCOPE_DEV
	s_mov_b32 s22, -1
	s_mov_b32 s15, exec_lo
	v_add_nc_u32_e32 v11, -1, v18
	s_wait_alu 0xfffd
	s_delay_alu instid0(VALU_DEP_1) | instskip(NEXT) | instid1(VALU_DEP_1)
	v_cndmask_b32_e32 v11, v8, v11, vcc_lo
	v_ashrrev_i32_e32 v12, 31, v11
	s_delay_alu instid0(VALU_DEP_1) | instskip(NEXT) | instid1(VALU_DEP_1)
	v_lshlrev_b64_e32 v[14:15], 2, v[11:12]
	v_add_co_u32 v14, vcc_lo, s8, v14
	s_wait_alu 0xfffd
	s_delay_alu instid0(VALU_DEP_2)
	v_add_co_ci_u32_e64 v15, null, s9, v15, vcc_lo
	global_load_b32 v12, v[14:15], off
	s_wait_loadcnt 0x0
	v_cmpx_neq_f32_e32 0, v12
	s_xor_b32 s15, exec_lo, s15
	s_cbranch_execz .LBB6_10
; %bb.15:                               ;   in Loop: Header=BB6_11 Depth=1
	v_div_scale_f32 v8, null, v12, v12, v13
	v_div_scale_f32 v19, vcc_lo, v13, v12, v13
	s_mov_b32 s22, exec_lo
	v_rcp_f32_e32 v14, v8
	v_add_nc_u32_e32 v7, 1, v7
	s_delay_alu instid0(TRANS32_DEP_1) | instskip(NEXT) | instid1(VALU_DEP_1)
	v_fma_f32 v15, -v8, v14, 1.0
	v_fmac_f32_e32 v14, v15, v14
	s_delay_alu instid0(VALU_DEP_1) | instskip(NEXT) | instid1(VALU_DEP_1)
	v_mul_f32_e32 v15, v19, v14
	v_fma_f32 v20, -v8, v15, v19
	s_delay_alu instid0(VALU_DEP_1) | instskip(NEXT) | instid1(VALU_DEP_1)
	v_fmac_f32_e32 v15, v20, v14
	v_fma_f32 v8, -v8, v15, v19
	s_wait_alu 0xfffd
	s_delay_alu instid0(VALU_DEP_1) | instskip(SKIP_1) | instid1(VALU_DEP_2)
	v_div_fmas_f32 v14, v8, v14, v15
	v_add_nc_u32_e32 v8, v16, v11
	v_div_fixup_f32 v19, v14, v12, v13
	global_store_b32 v[9:10], v19, off
	v_cmpx_lt_i32_e64 v8, v18
	s_cbranch_execz .LBB6_9
; %bb.16:                               ;   in Loop: Header=BB6_11 Depth=1
	v_mov_b32_e32 v10, v7
	s_mov_b32 s23, 0
	s_branch .LBB6_18
.LBB6_17:                               ;   in Loop: Header=BB6_18 Depth=2
	s_wait_alu 0xfffe
	s_or_b32 exec_lo, exec_lo, s24
	v_add_nc_u32_e32 v8, 32, v8
	s_delay_alu instid0(VALU_DEP_1) | instskip(SKIP_1) | instid1(SALU_CYCLE_1)
	v_cmp_ge_i32_e32 vcc_lo, v8, v18
	s_or_b32 s23, vcc_lo, s23
	s_and_not1_b32 exec_lo, exec_lo, s23
	s_cbranch_execz .LBB6_9
.LBB6_18:                               ;   Parent Loop BB6_11 Depth=1
                                        ; =>  This Loop Header: Depth=2
                                        ;       Child Loop BB6_20 Depth 3
	s_delay_alu instid0(VALU_DEP_1) | instskip(SKIP_1) | instid1(VALU_DEP_1)
	v_add_nc_u32_e32 v9, v10, v17
	s_mov_b32 s24, exec_lo
	v_ashrrev_i32_e32 v14, 1, v9
	v_ashrrev_i32_e32 v9, 31, v8
	s_delay_alu instid0(VALU_DEP_2) | instskip(NEXT) | instid1(VALU_DEP_2)
	v_ashrrev_i32_e32 v15, 31, v14
	v_lshlrev_b64_e32 v[12:13], 2, v[8:9]
	s_delay_alu instid0(VALU_DEP_2) | instskip(NEXT) | instid1(VALU_DEP_2)
	v_lshlrev_b64_e32 v[20:21], 2, v[14:15]
	v_add_co_u32 v22, vcc_lo, s6, v12
	s_wait_alu 0xfffd
	s_delay_alu instid0(VALU_DEP_3) | instskip(NEXT) | instid1(VALU_DEP_3)
	v_add_co_ci_u32_e64 v23, null, s7, v13, vcc_lo
	v_add_co_u32 v20, vcc_lo, s6, v20
	s_wait_alu 0xfffd
	v_add_co_ci_u32_e64 v21, null, s7, v21, vcc_lo
	s_clause 0x1
	global_load_b32 v9, v[22:23], off
	global_load_b32 v11, v[20:21], off
	v_cmpx_lt_i32_e64 v10, v17
	s_cbranch_execz .LBB6_22
; %bb.19:                               ;   in Loop: Header=BB6_18 Depth=2
	v_mov_b32_e32 v20, v17
	s_mov_b32 s25, 0
.LBB6_20:                               ;   Parent Loop BB6_11 Depth=1
                                        ;     Parent Loop BB6_18 Depth=2
                                        ; =>    This Inner Loop Header: Depth=3
	s_wait_loadcnt 0x0
	v_cmp_lt_i32_e32 vcc_lo, v11, v9
	s_wait_alu 0xfffd
	v_dual_cndmask_b32 v20, v14, v20 :: v_dual_add_nc_u32 v15, 1, v14
	s_delay_alu instid0(VALU_DEP_1) | instskip(NEXT) | instid1(VALU_DEP_1)
	v_cndmask_b32_e32 v10, v10, v15, vcc_lo
	v_add_nc_u32_e32 v11, v20, v10
	s_delay_alu instid0(VALU_DEP_1) | instskip(NEXT) | instid1(VALU_DEP_1)
	v_ashrrev_i32_e32 v14, 1, v11
	v_ashrrev_i32_e32 v15, 31, v14
	s_delay_alu instid0(VALU_DEP_1) | instskip(NEXT) | instid1(VALU_DEP_1)
	v_lshlrev_b64_e32 v[21:22], 2, v[14:15]
	v_add_co_u32 v21, vcc_lo, s6, v21
	s_wait_alu 0xfffd
	s_delay_alu instid0(VALU_DEP_2)
	v_add_co_ci_u32_e64 v22, null, s7, v22, vcc_lo
	v_cmp_ge_i32_e32 vcc_lo, v10, v20
	global_load_b32 v11, v[21:22], off
	s_wait_alu 0xfffe
	s_or_b32 s25, vcc_lo, s25
	s_wait_alu 0xfffe
	s_and_not1_b32 exec_lo, exec_lo, s25
	s_cbranch_execnz .LBB6_20
; %bb.21:                               ;   in Loop: Header=BB6_18 Depth=2
	s_or_b32 exec_lo, exec_lo, s25
.LBB6_22:                               ;   in Loop: Header=BB6_18 Depth=2
	s_wait_alu 0xfffe
	s_or_b32 exec_lo, exec_lo, s24
	s_delay_alu instid0(SALU_CYCLE_1)
	s_mov_b32 s24, exec_lo
	s_wait_loadcnt 0x0
	v_cmpx_eq_u32_e64 v11, v9
	s_cbranch_execz .LBB6_17
; %bb.23:                               ;   in Loop: Header=BB6_18 Depth=2
	v_ashrrev_i32_e32 v11, 31, v10
	s_delay_alu instid0(VALU_DEP_1) | instskip(SKIP_3) | instid1(VALU_DEP_3)
	v_lshlrev_b64_e32 v[14:15], 2, v[10:11]
	v_add_co_u32 v11, vcc_lo, s8, v12
	s_wait_alu 0xfffd
	v_add_co_ci_u32_e64 v12, null, s9, v13, vcc_lo
	v_add_co_u32 v13, vcc_lo, s8, v14
	s_wait_alu 0xfffd
	v_add_co_ci_u32_e64 v14, null, s9, v15, vcc_lo
	s_clause 0x1
	global_load_b32 v9, v[11:12], off
	global_load_b32 v11, v[13:14], off
	s_wait_loadcnt 0x0
	v_fma_f32 v9, -v19, v9, v11
	global_store_b32 v[13:14], v9, off
	s_branch .LBB6_17
.LBB6_24:
	s_wait_alu 0xfffe
	s_or_b32 exec_lo, exec_lo, s2
	s_mov_b32 s5, -1
	s_mov_b32 s4, exec_lo
	s_wait_storecnt_dscnt 0x0
	global_inv scope:SCOPE_SE
	v_cmpx_lt_i32_e32 -1, v6
	s_cbranch_execz .LBB6_40
; %bb.25:
	v_mov_b32_e32 v7, 0
	v_cmp_eq_u32_e64 s2, 0, v0
	s_delay_alu instid0(VALU_DEP_2) | instskip(NEXT) | instid1(VALU_DEP_1)
	v_lshlrev_b64_e32 v[6:7], 2, v[6:7]
	v_add_co_u32 v8, vcc_lo, s8, v6
	s_wait_alu 0xfffd
	s_delay_alu instid0(VALU_DEP_2)
	v_add_co_ci_u32_e64 v9, null, s9, v7, vcc_lo
	global_load_b32 v10, v[8:9], off
	s_wait_loadcnt 0x0
	v_cmp_gt_f32_e32 vcc_lo, 0, v10
	s_wait_alu 0xfffd
	v_cndmask_b32_e64 v6, v10, -v10, vcc_lo
	s_and_not1_b32 vcc_lo, exec_lo, s29
	s_delay_alu instid0(VALU_DEP_1)
	v_cvt_f64_f32_e32 v[6:7], v6
	s_wait_alu 0xfffe
	s_cbranch_vccnz .LBB6_29
; %bb.26:
	v_cvt_f64_f32_e32 v[11:12], s30
	s_cmp_eq_u64 s[20:21], 8
	s_cselect_b32 vcc_lo, -1, 0
	s_wait_alu 0xfffe
	s_delay_alu instid0(VALU_DEP_1) | instskip(NEXT) | instid1(VALU_DEP_1)
	v_dual_cndmask_b32 v4, v12, v4 :: v_dual_cndmask_b32 v3, v11, v3
	v_cmp_ge_f64_e32 vcc_lo, v[3:4], v[6:7]
	s_and_b32 s6, s2, vcc_lo
	s_wait_alu 0xfffe
	s_and_saveexec_b32 s5, s6
	s_cbranch_execz .LBB6_28
; %bb.27:
	v_mov_b32_e32 v3, s3
	global_store_b32 v[8:9], v3, off
.LBB6_28:
	s_wait_alu 0xfffe
	s_or_b32 exec_lo, exec_lo, s5
	s_mov_b32 s5, 0
.LBB6_29:
	s_wait_alu 0xfffe
	s_and_not1_b32 vcc_lo, exec_lo, s5
	s_wait_alu 0xfffe
	s_cbranch_vccnz .LBB6_40
; %bb.30:
	s_load_b64 s[0:1], s[0:1], 0x48
	v_add_nc_u32_e32 v3, s28, v5
	s_wait_kmcnt 0x0
	s_delay_alu instid0(VALU_DEP_2)
	v_cmp_ge_f64_e32 vcc_lo, s[0:1], v[6:7]
	s_and_b32 s1, s2, vcc_lo
	s_wait_alu 0xfffe
	s_and_saveexec_b32 s0, s1
	s_cbranch_execz .LBB6_35
; %bb.31:
	s_mov_b32 s3, exec_lo
	s_brev_b32 s1, -2
.LBB6_32:                               ; =>This Inner Loop Header: Depth=1
	s_wait_alu 0xfffe
	s_ctz_i32_b32 s5, s3
	s_wait_alu 0xfffe
	v_readlane_b32 s6, v3, s5
	s_lshl_b32 s5, 1, s5
	s_wait_alu 0xfffe
	s_and_not1_b32 s3, s3, s5
	s_min_i32 s1, s1, s6
	s_wait_alu 0xfffe
	s_cmp_lg_u32 s3, 0
	s_cbranch_scc1 .LBB6_32
; %bb.33:
	v_mbcnt_lo_u32_b32 v4, exec_lo, 0
	s_mov_b32 s3, exec_lo
	s_delay_alu instid0(VALU_DEP_1)
	v_cmpx_eq_u32_e32 0, v4
	s_wait_alu 0xfffe
	s_xor_b32 s3, exec_lo, s3
	s_cbranch_execz .LBB6_35
; %bb.34:
	v_dual_mov_b32 v4, 0 :: v_dual_mov_b32 v5, s1
	global_atomic_min_i32 v4, v5, s[18:19] scope:SCOPE_DEV
.LBB6_35:
	s_wait_alu 0xfffe
	s_or_b32 exec_lo, exec_lo, s0
	v_cmp_eq_f32_e32 vcc_lo, 0, v10
	s_and_b32 s0, s2, vcc_lo
	s_wait_alu 0xfffe
	s_and_b32 exec_lo, exec_lo, s0
	s_cbranch_execz .LBB6_40
; %bb.36:
	s_mov_b32 s1, exec_lo
	s_brev_b32 s0, -2
.LBB6_37:                               ; =>This Inner Loop Header: Depth=1
	s_wait_alu 0xfffe
	s_ctz_i32_b32 s2, s1
	s_wait_alu 0xfffe
	v_readlane_b32 s3, v3, s2
	s_lshl_b32 s2, 1, s2
	s_wait_alu 0xfffe
	s_and_not1_b32 s1, s1, s2
	s_min_i32 s0, s0, s3
	s_wait_alu 0xfffe
	s_cmp_lg_u32 s1, 0
	s_cbranch_scc1 .LBB6_37
; %bb.38:
	v_mbcnt_lo_u32_b32 v3, exec_lo, 0
	s_mov_b32 s1, exec_lo
	s_delay_alu instid0(VALU_DEP_1)
	v_cmpx_eq_u32_e32 0, v3
	s_wait_alu 0xfffe
	s_xor_b32 s1, exec_lo, s1
	s_cbranch_execz .LBB6_40
; %bb.39:
	v_dual_mov_b32 v3, 0 :: v_dual_mov_b32 v4, s0
	global_atomic_min_i32 v3, v4, s[16:17] scope:SCOPE_DEV
.LBB6_40:
	s_wait_alu 0xfffe
	s_or_b32 exec_lo, exec_lo, s4
	v_cmp_eq_u32_e32 vcc_lo, 0, v0
	s_wait_loadcnt 0x0
	s_wait_storecnt 0x0
	global_inv scope:SCOPE_DEV
	s_and_b32 exec_lo, exec_lo, vcc_lo
	s_cbranch_execz .LBB6_42
; %bb.41:
	v_add_co_u32 v0, vcc_lo, s12, v1
	s_wait_alu 0xfffd
	v_add_co_ci_u32_e64 v1, null, s13, v2, vcc_lo
	v_mov_b32_e32 v2, 1
	s_wait_loadcnt 0x0
	global_store_b32 v[0:1], v2, off scope:SCOPE_DEV
.LBB6_42:
	s_endpgm
	.section	.rodata,"a",@progbits
	.p2align	6, 0x0
	.amdhsa_kernel _ZN9rocsparseL17csrilu0_binsearchILj256ELj32ELb0EfEEviPKiS2_PT2_S2_PiS2_S5_S5_d21rocsparse_index_base_imNS_24const_host_device_scalarIfEENS7_IdEENS7_IS3_EEb
		.amdhsa_group_segment_fixed_size 0
		.amdhsa_private_segment_fixed_size 0
		.amdhsa_kernarg_size 124
		.amdhsa_user_sgpr_count 2
		.amdhsa_user_sgpr_dispatch_ptr 0
		.amdhsa_user_sgpr_queue_ptr 0
		.amdhsa_user_sgpr_kernarg_segment_ptr 1
		.amdhsa_user_sgpr_dispatch_id 0
		.amdhsa_user_sgpr_private_segment_size 0
		.amdhsa_wavefront_size32 1
		.amdhsa_uses_dynamic_stack 0
		.amdhsa_enable_private_segment 0
		.amdhsa_system_sgpr_workgroup_id_x 1
		.amdhsa_system_sgpr_workgroup_id_y 0
		.amdhsa_system_sgpr_workgroup_id_z 0
		.amdhsa_system_sgpr_workgroup_info 0
		.amdhsa_system_vgpr_workitem_id 0
		.amdhsa_next_free_vgpr 24
		.amdhsa_next_free_sgpr 31
		.amdhsa_reserve_vcc 1
		.amdhsa_float_round_mode_32 0
		.amdhsa_float_round_mode_16_64 0
		.amdhsa_float_denorm_mode_32 3
		.amdhsa_float_denorm_mode_16_64 3
		.amdhsa_fp16_overflow 0
		.amdhsa_workgroup_processor_mode 1
		.amdhsa_memory_ordered 1
		.amdhsa_forward_progress 1
		.amdhsa_inst_pref_size 16
		.amdhsa_round_robin_scheduling 0
		.amdhsa_exception_fp_ieee_invalid_op 0
		.amdhsa_exception_fp_denorm_src 0
		.amdhsa_exception_fp_ieee_div_zero 0
		.amdhsa_exception_fp_ieee_overflow 0
		.amdhsa_exception_fp_ieee_underflow 0
		.amdhsa_exception_fp_ieee_inexact 0
		.amdhsa_exception_int_div_zero 0
	.end_amdhsa_kernel
	.section	.text._ZN9rocsparseL17csrilu0_binsearchILj256ELj32ELb0EfEEviPKiS2_PT2_S2_PiS2_S5_S5_d21rocsparse_index_base_imNS_24const_host_device_scalarIfEENS7_IdEENS7_IS3_EEb,"axG",@progbits,_ZN9rocsparseL17csrilu0_binsearchILj256ELj32ELb0EfEEviPKiS2_PT2_S2_PiS2_S5_S5_d21rocsparse_index_base_imNS_24const_host_device_scalarIfEENS7_IdEENS7_IS3_EEb,comdat
.Lfunc_end6:
	.size	_ZN9rocsparseL17csrilu0_binsearchILj256ELj32ELb0EfEEviPKiS2_PT2_S2_PiS2_S5_S5_d21rocsparse_index_base_imNS_24const_host_device_scalarIfEENS7_IdEENS7_IS3_EEb, .Lfunc_end6-_ZN9rocsparseL17csrilu0_binsearchILj256ELj32ELb0EfEEviPKiS2_PT2_S2_PiS2_S5_S5_d21rocsparse_index_base_imNS_24const_host_device_scalarIfEENS7_IdEENS7_IS3_EEb
                                        ; -- End function
	.set _ZN9rocsparseL17csrilu0_binsearchILj256ELj32ELb0EfEEviPKiS2_PT2_S2_PiS2_S5_S5_d21rocsparse_index_base_imNS_24const_host_device_scalarIfEENS7_IdEENS7_IS3_EEb.num_vgpr, 24
	.set _ZN9rocsparseL17csrilu0_binsearchILj256ELj32ELb0EfEEviPKiS2_PT2_S2_PiS2_S5_S5_d21rocsparse_index_base_imNS_24const_host_device_scalarIfEENS7_IdEENS7_IS3_EEb.num_agpr, 0
	.set _ZN9rocsparseL17csrilu0_binsearchILj256ELj32ELb0EfEEviPKiS2_PT2_S2_PiS2_S5_S5_d21rocsparse_index_base_imNS_24const_host_device_scalarIfEENS7_IdEENS7_IS3_EEb.numbered_sgpr, 31
	.set _ZN9rocsparseL17csrilu0_binsearchILj256ELj32ELb0EfEEviPKiS2_PT2_S2_PiS2_S5_S5_d21rocsparse_index_base_imNS_24const_host_device_scalarIfEENS7_IdEENS7_IS3_EEb.num_named_barrier, 0
	.set _ZN9rocsparseL17csrilu0_binsearchILj256ELj32ELb0EfEEviPKiS2_PT2_S2_PiS2_S5_S5_d21rocsparse_index_base_imNS_24const_host_device_scalarIfEENS7_IdEENS7_IS3_EEb.private_seg_size, 0
	.set _ZN9rocsparseL17csrilu0_binsearchILj256ELj32ELb0EfEEviPKiS2_PT2_S2_PiS2_S5_S5_d21rocsparse_index_base_imNS_24const_host_device_scalarIfEENS7_IdEENS7_IS3_EEb.uses_vcc, 1
	.set _ZN9rocsparseL17csrilu0_binsearchILj256ELj32ELb0EfEEviPKiS2_PT2_S2_PiS2_S5_S5_d21rocsparse_index_base_imNS_24const_host_device_scalarIfEENS7_IdEENS7_IS3_EEb.uses_flat_scratch, 0
	.set _ZN9rocsparseL17csrilu0_binsearchILj256ELj32ELb0EfEEviPKiS2_PT2_S2_PiS2_S5_S5_d21rocsparse_index_base_imNS_24const_host_device_scalarIfEENS7_IdEENS7_IS3_EEb.has_dyn_sized_stack, 0
	.set _ZN9rocsparseL17csrilu0_binsearchILj256ELj32ELb0EfEEviPKiS2_PT2_S2_PiS2_S5_S5_d21rocsparse_index_base_imNS_24const_host_device_scalarIfEENS7_IdEENS7_IS3_EEb.has_recursion, 0
	.set _ZN9rocsparseL17csrilu0_binsearchILj256ELj32ELb0EfEEviPKiS2_PT2_S2_PiS2_S5_S5_d21rocsparse_index_base_imNS_24const_host_device_scalarIfEENS7_IdEENS7_IS3_EEb.has_indirect_call, 0
	.section	.AMDGPU.csdata,"",@progbits
; Kernel info:
; codeLenInByte = 1976
; TotalNumSgprs: 33
; NumVgprs: 24
; ScratchSize: 0
; MemoryBound: 0
; FloatMode: 240
; IeeeMode: 1
; LDSByteSize: 0 bytes/workgroup (compile time only)
; SGPRBlocks: 0
; VGPRBlocks: 2
; NumSGPRsForWavesPerEU: 33
; NumVGPRsForWavesPerEU: 24
; Occupancy: 16
; WaveLimiterHint : 1
; COMPUTE_PGM_RSRC2:SCRATCH_EN: 0
; COMPUTE_PGM_RSRC2:USER_SGPR: 2
; COMPUTE_PGM_RSRC2:TRAP_HANDLER: 0
; COMPUTE_PGM_RSRC2:TGID_X_EN: 1
; COMPUTE_PGM_RSRC2:TGID_Y_EN: 0
; COMPUTE_PGM_RSRC2:TGID_Z_EN: 0
; COMPUTE_PGM_RSRC2:TIDIG_COMP_CNT: 0
	.section	.text._ZN9rocsparseL12csrilu0_hashILj256ELj64ELj1EfEEviPKiS2_PT2_S2_PiS2_S5_S5_d21rocsparse_index_base_imNS_24const_host_device_scalarIfEENS7_IdEENS7_IS3_EEb,"axG",@progbits,_ZN9rocsparseL12csrilu0_hashILj256ELj64ELj1EfEEviPKiS2_PT2_S2_PiS2_S5_S5_d21rocsparse_index_base_imNS_24const_host_device_scalarIfEENS7_IdEENS7_IS3_EEb,comdat
	.globl	_ZN9rocsparseL12csrilu0_hashILj256ELj64ELj1EfEEviPKiS2_PT2_S2_PiS2_S5_S5_d21rocsparse_index_base_imNS_24const_host_device_scalarIfEENS7_IdEENS7_IS3_EEb ; -- Begin function _ZN9rocsparseL12csrilu0_hashILj256ELj64ELj1EfEEviPKiS2_PT2_S2_PiS2_S5_S5_d21rocsparse_index_base_imNS_24const_host_device_scalarIfEENS7_IdEENS7_IS3_EEb
	.p2align	8
	.type	_ZN9rocsparseL12csrilu0_hashILj256ELj64ELj1EfEEviPKiS2_PT2_S2_PiS2_S5_S5_d21rocsparse_index_base_imNS_24const_host_device_scalarIfEENS7_IdEENS7_IS3_EEb,@function
_ZN9rocsparseL12csrilu0_hashILj256ELj64ELj1EfEEviPKiS2_PT2_S2_PiS2_S5_S5_d21rocsparse_index_base_imNS_24const_host_device_scalarIfEENS7_IdEENS7_IS3_EEb: ; @_ZN9rocsparseL12csrilu0_hashILj256ELj64ELj1EfEEviPKiS2_PT2_S2_PiS2_S5_S5_d21rocsparse_index_base_imNS_24const_host_device_scalarIfEENS7_IdEENS7_IS3_EEb
; %bb.0:
	s_clause 0x2
	s_load_b32 s2, s[0:1], 0x78
	s_load_b64 s[28:29], s[0:1], 0x50
	s_load_b256 s[20:27], s[0:1], 0x58
	s_wait_kmcnt 0x0
	s_bitcmp1_b32 s2, 0
	s_cselect_b32 s2, -1, 0
	s_cmp_eq_u32 s29, 0
	s_cselect_b32 s4, -1, 0
	s_cmp_lg_u32 s29, 0
	s_cselect_b32 s29, -1, 0
	s_or_b32 s6, s4, s2
	s_delay_alu instid0(SALU_CYCLE_1)
	s_xor_b32 s5, s6, -1
	s_and_b32 s2, s4, exec_lo
	s_cselect_b32 s3, 0, s25
	s_cselect_b32 s2, 0, s24
	;; [unrolled: 1-line block ×3, first 2 shown]
	s_and_b32 vcc_lo, exec_lo, s6
	s_cbranch_vccnz .LBB7_2
; %bb.1:
	s_load_b32 s30, s[22:23], 0x0
	s_mov_b64 s[2:3], s[24:25]
.LBB7_2:
	v_cndmask_b32_e64 v1, 0, 1, s5
	v_dual_mov_b32 v2, s2 :: v_dual_mov_b32 v3, s3
	s_and_not1_b32 vcc_lo, exec_lo, s5
	s_cbranch_vccnz .LBB7_4
; %bb.3:
	v_dual_mov_b32 v2, s24 :: v_dual_mov_b32 v3, s25
	flat_load_b64 v[2:3], v[2:3]
.LBB7_4:
	s_delay_alu instid0(VALU_DEP_2)
	v_cmp_ne_u32_e32 vcc_lo, 1, v1
	s_and_b32 s2, s4, exec_lo
	s_cselect_b32 s3, 0, s26
	s_cbranch_vccnz .LBB7_6
; %bb.5:
	s_load_b32 s3, s[26:27], 0x0
.LBB7_6:
	s_load_b32 s2, s[0:1], 0x0
	v_and_b32_e32 v8, 0xc0, v0
	v_lshrrev_b32_e32 v1, 6, v0
	s_lshl_b32 s4, ttmp9, 2
	v_and_b32_e32 v12, 63, v0
	v_mov_b32_e32 v4, -1
	v_lshl_or_b32 v13, v8, 2, 0x400
	s_wait_alu 0xfffe
	v_and_or_b32 v0, 0x3fffffc, s4, v1
	s_delay_alu instid0(VALU_DEP_2)
	v_lshl_or_b32 v1, v12, 2, v13
	ds_store_b32 v1, v4
	s_wait_loadcnt_dscnt 0x0
	global_inv scope:SCOPE_SE
	s_wait_kmcnt 0x0
	v_cmp_gt_i32_e32 vcc_lo, s2, v0
	s_and_saveexec_b32 s2, vcc_lo
	s_cbranch_execz .LBB7_78
; %bb.7:
	s_load_b512 s[4:19], s[0:1], 0x8
	v_lshlrev_b32_e32 v0, 2, v0
	v_lshlrev_b32_e32 v14, 2, v8
	s_mov_b32 s2, exec_lo
	s_wait_kmcnt 0x0
	global_load_b32 v4, v0, s[14:15]
	s_wait_loadcnt 0x0
	v_ashrrev_i32_e32 v5, 31, v4
	s_delay_alu instid0(VALU_DEP_1) | instskip(NEXT) | instid1(VALU_DEP_1)
	v_lshlrev_b64_e32 v[0:1], 2, v[4:5]
	v_add_co_u32 v5, vcc_lo, s4, v0
	s_delay_alu instid0(VALU_DEP_1)
	v_add_co_ci_u32_e64 v6, null, s5, v1, vcc_lo
	v_add_co_u32 v9, vcc_lo, s10, v0
	s_wait_alu 0xfffd
	v_add_co_ci_u32_e64 v10, null, s11, v1, vcc_lo
	global_load_b64 v[6:7], v[5:6], off
	global_load_b32 v5, v[9:10], off
	s_wait_loadcnt 0x1
	v_subrev_nc_u32_e32 v6, s28, v6
	v_subrev_nc_u32_e32 v9, s28, v7
	s_delay_alu instid0(VALU_DEP_2) | instskip(NEXT) | instid1(VALU_DEP_1)
	v_add_nc_u32_e32 v7, v6, v12
	v_cmpx_lt_i32_e64 v7, v9
	s_cbranch_execz .LBB7_30
; %bb.8:
	v_mov_b32_e32 v10, -1
	s_mov_b32 s14, 0
	s_branch .LBB7_10
.LBB7_9:                                ;   in Loop: Header=BB7_10 Depth=1
	s_or_b32 exec_lo, exec_lo, s15
	v_add_nc_u32_e32 v7, 64, v7
	s_delay_alu instid0(VALU_DEP_1) | instskip(SKIP_1) | instid1(SALU_CYCLE_1)
	v_cmp_ge_i32_e32 vcc_lo, v7, v9
	s_or_b32 s14, vcc_lo, s14
	s_and_not1_b32 exec_lo, exec_lo, s14
	s_cbranch_execz .LBB7_30
.LBB7_10:                               ; =>This Loop Header: Depth=1
                                        ;     Child Loop BB7_19 Depth 2
	v_ashrrev_i32_e32 v8, 31, v7
	v_mov_b32_e32 v11, 64
	s_mov_b32 s15, 0
                                        ; implicit-def: $sgpr22
                                        ; implicit-def: $sgpr23
                                        ; implicit-def: $sgpr24
	s_delay_alu instid0(VALU_DEP_2) | instskip(NEXT) | instid1(VALU_DEP_1)
	v_lshlrev_b64_e32 v[15:16], 2, v[7:8]
	v_add_co_u32 v15, vcc_lo, s6, v15
	s_wait_alu 0xfffd
	s_delay_alu instid0(VALU_DEP_2)
	v_add_co_ci_u32_e64 v16, null, s7, v16, vcc_lo
	global_load_b32 v8, v[15:16], off
	s_wait_loadcnt 0x0
	v_mul_lo_u32 v16, v8, 39
	s_branch .LBB7_19
.LBB7_11:                               ;   in Loop: Header=BB7_19 Depth=2
	s_or_b32 exec_lo, exec_lo, s38
	s_delay_alu instid0(SALU_CYCLE_1)
	s_or_not1_b32 s36, s36, exec_lo
	s_or_not1_b32 s37, s37, exec_lo
.LBB7_12:                               ;   in Loop: Header=BB7_19 Depth=2
	s_or_b32 exec_lo, exec_lo, s35
	s_delay_alu instid0(SALU_CYCLE_1)
	s_and_b32 s36, s36, exec_lo
	s_or_not1_b32 s35, s37, exec_lo
.LBB7_13:                               ;   in Loop: Header=BB7_19 Depth=2
	s_or_b32 exec_lo, exec_lo, s34
	s_delay_alu instid0(SALU_CYCLE_1)
	s_or_not1_b32 s34, s36, exec_lo
	s_or_not1_b32 s35, s35, exec_lo
.LBB7_14:                               ;   in Loop: Header=BB7_19 Depth=2
	s_or_b32 exec_lo, exec_lo, s33
	s_delay_alu instid0(SALU_CYCLE_1)
	s_and_b32 s34, s34, exec_lo
	s_or_not1_b32 s33, s35, exec_lo
.LBB7_15:                               ;   in Loop: Header=BB7_19 Depth=2
	s_or_b32 exec_lo, exec_lo, s31
	s_delay_alu instid0(SALU_CYCLE_1)
	s_or_not1_b32 s31, s34, exec_lo
	s_or_not1_b32 s33, s33, exec_lo
.LBB7_16:                               ;   in Loop: Header=BB7_19 Depth=2
	s_or_b32 exec_lo, exec_lo, s27
	s_delay_alu instid0(SALU_CYCLE_1)
	s_and_b32 s31, s31, exec_lo
	s_or_not1_b32 s27, s33, exec_lo
.LBB7_17:                               ;   in Loop: Header=BB7_19 Depth=2
	s_or_b32 exec_lo, exec_lo, s26
	s_wait_alu 0xfffe
	s_and_not1_b32 s24, s24, exec_lo
	s_and_b32 s26, s31, exec_lo
	s_and_not1_b32 s23, s23, exec_lo
	s_and_b32 s27, s27, exec_lo
	s_wait_alu 0xfffe
	s_or_b32 s24, s24, s26
	s_or_b32 s23, s23, s27
.LBB7_18:                               ;   in Loop: Header=BB7_19 Depth=2
	s_wait_alu 0xfffe
	s_or_b32 exec_lo, exec_lo, s25
	s_delay_alu instid0(SALU_CYCLE_1)
	s_and_b32 s25, exec_lo, s23
	s_wait_alu 0xfffe
	s_or_b32 s15, s25, s15
	s_and_not1_b32 s22, s22, exec_lo
	s_and_b32 s25, s24, exec_lo
	s_wait_alu 0xfffe
	s_or_b32 s22, s22, s25
	s_and_not1_b32 exec_lo, exec_lo, s15
	s_cbranch_execz .LBB7_28
.LBB7_19:                               ;   Parent Loop BB7_10 Depth=1
                                        ; =>  This Inner Loop Header: Depth=2
	s_delay_alu instid0(VALU_DEP_1) | instskip(SKIP_3) | instid1(VALU_DEP_1)
	v_and_b32_e32 v15, 63, v16
	s_or_b32 s24, s24, exec_lo
	s_or_b32 s23, s23, exec_lo
	s_mov_b32 s25, exec_lo
	v_lshl_add_u32 v17, v15, 2, v13
	ds_load_b32 v18, v17
	s_wait_dscnt 0x0
	v_cmpx_ne_u32_e64 v18, v8
	s_cbranch_execz .LBB7_18
; %bb.20:                               ;   in Loop: Header=BB7_19 Depth=2
	ds_cmpstore_rtn_b32 v17, v17, v8, v10
	s_mov_b32 s27, -1
	s_mov_b32 s31, 0
	s_mov_b32 s26, exec_lo
	s_wait_dscnt 0x0
	v_cmpx_ne_u32_e32 -1, v17
	s_cbranch_execz .LBB7_17
; %bb.21:                               ;   in Loop: Header=BB7_19 Depth=2
	v_add_nc_u32_e32 v15, 1, v16
	s_mov_b32 s33, -1
	s_mov_b32 s31, -1
	s_mov_b32 s27, exec_lo
	s_delay_alu instid0(VALU_DEP_1) | instskip(NEXT) | instid1(VALU_DEP_1)
	v_and_b32_e32 v15, 63, v15
	v_lshl_add_u32 v17, v15, 2, v13
	ds_load_b32 v18, v17
	s_wait_dscnt 0x0
	v_cmpx_ne_u32_e64 v18, v8
	s_cbranch_execz .LBB7_16
; %bb.22:                               ;   in Loop: Header=BB7_19 Depth=2
	ds_cmpstore_rtn_b32 v17, v17, v8, v10
	s_mov_b32 s34, 0
	s_mov_b32 s31, exec_lo
	s_wait_dscnt 0x0
	v_cmpx_ne_u32_e32 -1, v17
	s_cbranch_execz .LBB7_15
; %bb.23:                               ;   in Loop: Header=BB7_19 Depth=2
	v_add_nc_u32_e32 v15, 2, v16
	s_mov_b32 s35, -1
	s_mov_b32 s34, -1
	s_mov_b32 s33, exec_lo
	s_delay_alu instid0(VALU_DEP_1) | instskip(NEXT) | instid1(VALU_DEP_1)
	v_and_b32_e32 v15, 63, v15
	v_lshl_add_u32 v17, v15, 2, v13
	ds_load_b32 v18, v17
	s_wait_dscnt 0x0
	v_cmpx_ne_u32_e64 v18, v8
	s_cbranch_execz .LBB7_14
; %bb.24:                               ;   in Loop: Header=BB7_19 Depth=2
	ds_cmpstore_rtn_b32 v17, v17, v8, v10
	s_mov_b32 s36, 0
	s_mov_b32 s34, exec_lo
	s_wait_dscnt 0x0
	v_cmpx_ne_u32_e32 -1, v17
	s_cbranch_execz .LBB7_13
; %bb.25:                               ;   in Loop: Header=BB7_19 Depth=2
	v_add_nc_u32_e32 v15, 3, v16
	s_mov_b32 s37, -1
	s_mov_b32 s36, -1
	s_delay_alu instid0(VALU_DEP_1) | instskip(NEXT) | instid1(VALU_DEP_1)
	v_and_b32_e32 v15, 63, v15
	v_lshl_add_u32 v17, v15, 2, v13
	ds_load_b32 v16, v17
	s_wait_dscnt 0x0
	v_cmp_ne_u32_e32 vcc_lo, v16, v8
                                        ; implicit-def: $vgpr16
	s_and_saveexec_b32 s35, vcc_lo
	s_cbranch_execz .LBB7_12
; %bb.26:                               ;   in Loop: Header=BB7_19 Depth=2
	ds_cmpstore_rtn_b32 v16, v17, v8, v10
	s_mov_b32 s36, 0
	s_wait_dscnt 0x0
	v_cmp_ne_u32_e32 vcc_lo, -1, v16
                                        ; implicit-def: $vgpr16
	s_and_saveexec_b32 s38, vcc_lo
	s_cbranch_execz .LBB7_11
; %bb.27:                               ;   in Loop: Header=BB7_19 Depth=2
	v_add_nc_u32_e32 v11, -4, v11
	v_add_nc_u32_e32 v16, 1, v15
	s_mov_b32 s36, exec_lo
	s_delay_alu instid0(VALU_DEP_2)
	v_cmp_eq_u32_e32 vcc_lo, 0, v11
	s_or_not1_b32 s37, vcc_lo, exec_lo
	s_branch .LBB7_11
.LBB7_28:                               ;   in Loop: Header=BB7_10 Depth=1
	s_or_b32 exec_lo, exec_lo, s15
	s_xor_b32 s15, s22, -1
	s_delay_alu instid0(SALU_CYCLE_1) | instskip(NEXT) | instid1(SALU_CYCLE_1)
	s_and_saveexec_b32 s22, s15
	s_xor_b32 s15, exec_lo, s22
	s_cbranch_execz .LBB7_9
; %bb.29:                               ;   in Loop: Header=BB7_10 Depth=1
	v_lshl_add_u32 v8, v15, 2, v14
	ds_store_b32 v8, v7
	s_branch .LBB7_9
.LBB7_30:
	s_wait_alu 0xfffe
	s_or_b32 exec_lo, exec_lo, s2
	s_delay_alu instid0(SALU_CYCLE_1)
	s_mov_b32 s2, exec_lo
	s_wait_loadcnt_dscnt 0x0
	global_inv scope:SCOPE_SE
	v_cmpx_lt_i32_e64 v6, v5
	s_cbranch_execz .LBB7_60
; %bb.31:
	v_add_nc_u32_e32 v15, 1, v12
	s_mov_b32 s14, 0
	s_branch .LBB7_34
.LBB7_32:                               ;   in Loop: Header=BB7_34 Depth=1
	s_or_b32 exec_lo, exec_lo, s22
	v_add_nc_u32_e32 v6, 1, v6
	s_delay_alu instid0(VALU_DEP_1)
	v_cmp_ge_i32_e32 vcc_lo, v6, v5
	s_or_not1_b32 s22, vcc_lo, exec_lo
.LBB7_33:                               ;   in Loop: Header=BB7_34 Depth=1
	s_or_b32 exec_lo, exec_lo, s15
	s_delay_alu instid0(SALU_CYCLE_1) | instskip(NEXT) | instid1(SALU_CYCLE_1)
	s_and_b32 s15, exec_lo, s22
	s_or_b32 s14, s15, s14
	s_delay_alu instid0(SALU_CYCLE_1)
	s_and_not1_b32 exec_lo, exec_lo, s14
	s_cbranch_execz .LBB7_60
.LBB7_34:                               ; =>This Loop Header: Depth=1
                                        ;     Child Loop BB7_35 Depth 2
                                        ;     Child Loop BB7_40 Depth 2
                                        ;       Child Loop BB7_49 Depth 3
	v_ashrrev_i32_e32 v7, 31, v6
	s_mov_b32 s15, 0
	s_delay_alu instid0(VALU_DEP_1) | instskip(NEXT) | instid1(VALU_DEP_1)
	v_lshlrev_b64_e32 v[8:9], 2, v[6:7]
	v_add_co_u32 v10, vcc_lo, s6, v8
	s_wait_alu 0xfffd
	s_delay_alu instid0(VALU_DEP_2)
	v_add_co_ci_u32_e64 v11, null, s7, v9, vcc_lo
	v_add_co_u32 v8, vcc_lo, s8, v8
	s_wait_alu 0xfffd
	v_add_co_ci_u32_e64 v9, null, s9, v9, vcc_lo
	global_load_b32 v7, v[10:11], off
	s_wait_loadcnt 0x0
	v_subrev_nc_u32_e32 v10, s28, v7
	s_delay_alu instid0(VALU_DEP_1) | instskip(NEXT) | instid1(VALU_DEP_1)
	v_ashrrev_i32_e32 v11, 31, v10
	v_lshlrev_b64_e32 v[10:11], 2, v[10:11]
	s_delay_alu instid0(VALU_DEP_1) | instskip(SKIP_1) | instid1(VALU_DEP_2)
	v_add_co_u32 v18, vcc_lo, s4, v10
	s_wait_alu 0xfffd
	v_add_co_ci_u32_e64 v19, null, s5, v11, vcc_lo
	v_add_co_u32 v20, vcc_lo, s10, v10
	s_wait_alu 0xfffd
	v_add_co_ci_u32_e64 v21, null, s11, v11, vcc_lo
	global_load_b32 v17, v[8:9], off
	global_load_b32 v7, v[18:19], off offset:4
	global_load_b32 v18, v[20:21], off
	v_add_co_u32 v10, vcc_lo, s12, v10
	s_wait_alu 0xfffd
	v_add_co_ci_u32_e64 v11, null, s13, v11, vcc_lo
.LBB7_35:                               ;   Parent Loop BB7_34 Depth=1
                                        ; =>  This Inner Loop Header: Depth=2
	global_load_b32 v16, v[10:11], off scope:SCOPE_DEV
	s_wait_loadcnt 0x0
	v_cmp_ne_u32_e32 vcc_lo, 0, v16
	s_or_b32 s15, vcc_lo, s15
	s_delay_alu instid0(SALU_CYCLE_1)
	s_and_not1_b32 exec_lo, exec_lo, s15
	s_cbranch_execnz .LBB7_35
; %bb.36:                               ;   in Loop: Header=BB7_34 Depth=1
	s_or_b32 exec_lo, exec_lo, s15
	v_subrev_nc_u32_e32 v16, s28, v7
	v_cmp_eq_u32_e32 vcc_lo, -1, v18
	global_inv scope:SCOPE_DEV
	s_mov_b32 s22, -1
	s_mov_b32 s15, exec_lo
	v_add_nc_u32_e32 v7, -1, v16
	s_wait_alu 0xfffd
	s_delay_alu instid0(VALU_DEP_1) | instskip(NEXT) | instid1(VALU_DEP_1)
	v_cndmask_b32_e32 v10, v18, v7, vcc_lo
	v_ashrrev_i32_e32 v11, 31, v10
	s_delay_alu instid0(VALU_DEP_1) | instskip(NEXT) | instid1(VALU_DEP_1)
	v_lshlrev_b64_e32 v[18:19], 2, v[10:11]
	v_add_co_u32 v18, vcc_lo, s8, v18
	s_wait_alu 0xfffd
	s_delay_alu instid0(VALU_DEP_2)
	v_add_co_ci_u32_e64 v19, null, s9, v19, vcc_lo
	global_load_b32 v11, v[18:19], off
	s_wait_loadcnt 0x0
	v_cmpx_neq_f32_e32 0, v11
	s_cbranch_execz .LBB7_33
; %bb.37:                               ;   in Loop: Header=BB7_34 Depth=1
	v_div_scale_f32 v7, null, v11, v11, v17
	s_mov_b32 s22, exec_lo
	v_rcp_f32_e32 v18, v7
	s_delay_alu instid0(TRANS32_DEP_1) | instskip(NEXT) | instid1(VALU_DEP_1)
	v_fma_f32 v19, -v7, v18, 1.0
	v_fmac_f32_e32 v18, v19, v18
	v_div_scale_f32 v19, vcc_lo, v17, v11, v17
	s_delay_alu instid0(VALU_DEP_1) | instskip(NEXT) | instid1(VALU_DEP_1)
	v_mul_f32_e32 v20, v19, v18
	v_fma_f32 v21, -v7, v20, v19
	s_delay_alu instid0(VALU_DEP_1) | instskip(NEXT) | instid1(VALU_DEP_1)
	v_fmac_f32_e32 v20, v21, v18
	v_fma_f32 v7, -v7, v20, v19
	s_wait_alu 0xfffd
	s_delay_alu instid0(VALU_DEP_1) | instskip(SKIP_1) | instid1(VALU_DEP_2)
	v_div_fmas_f32 v18, v7, v18, v20
	v_add_nc_u32_e32 v7, v15, v10
	v_div_fixup_f32 v10, v18, v11, v17
	global_store_b32 v[8:9], v10, off
	v_cmpx_lt_i32_e64 v7, v16
	s_cbranch_execz .LBB7_32
; %bb.38:                               ;   in Loop: Header=BB7_34 Depth=1
	s_mov_b32 s23, 0
	s_branch .LBB7_40
.LBB7_39:                               ;   in Loop: Header=BB7_40 Depth=2
	s_wait_alu 0xfffe
	s_or_b32 exec_lo, exec_lo, s24
	v_add_nc_u32_e32 v7, 64, v7
	s_delay_alu instid0(VALU_DEP_1) | instskip(SKIP_1) | instid1(SALU_CYCLE_1)
	v_cmp_ge_i32_e32 vcc_lo, v7, v16
	s_or_b32 s23, vcc_lo, s23
	s_and_not1_b32 exec_lo, exec_lo, s23
	s_cbranch_execz .LBB7_32
.LBB7_40:                               ;   Parent Loop BB7_34 Depth=1
                                        ; =>  This Loop Header: Depth=2
                                        ;       Child Loop BB7_49 Depth 3
	v_ashrrev_i32_e32 v8, 31, v7
	s_mov_b32 s24, 0
                                        ; implicit-def: $sgpr25
                                        ; implicit-def: $sgpr26
                                        ; implicit-def: $sgpr27
	s_delay_alu instid0(VALU_DEP_1) | instskip(NEXT) | instid1(VALU_DEP_1)
	v_lshlrev_b64_e32 v[8:9], 2, v[7:8]
	v_add_co_u32 v17, vcc_lo, s6, v8
	s_wait_alu 0xfffd
	s_delay_alu instid0(VALU_DEP_2)
	v_add_co_ci_u32_e64 v18, null, s7, v9, vcc_lo
	global_load_b32 v11, v[17:18], off
	v_mov_b32_e32 v17, 64
	s_wait_loadcnt 0x0
	v_mul_lo_u32 v19, v11, 39
	s_branch .LBB7_49
.LBB7_41:                               ;   in Loop: Header=BB7_49 Depth=3
	s_or_b32 exec_lo, exec_lo, s41
	s_delay_alu instid0(SALU_CYCLE_1)
	s_or_not1_b32 s39, s39, exec_lo
	s_or_not1_b32 s40, s40, exec_lo
.LBB7_42:                               ;   in Loop: Header=BB7_49 Depth=3
	s_or_b32 exec_lo, exec_lo, s38
	s_delay_alu instid0(SALU_CYCLE_1)
	s_and_b32 s39, s39, exec_lo
	s_or_not1_b32 s38, s40, exec_lo
.LBB7_43:                               ;   in Loop: Header=BB7_49 Depth=3
	s_or_b32 exec_lo, exec_lo, s37
	s_delay_alu instid0(SALU_CYCLE_1)
	s_or_not1_b32 s37, s39, exec_lo
	s_or_not1_b32 s38, s38, exec_lo
.LBB7_44:                               ;   in Loop: Header=BB7_49 Depth=3
	s_or_b32 exec_lo, exec_lo, s36
	s_delay_alu instid0(SALU_CYCLE_1)
	s_and_b32 s37, s37, exec_lo
	s_or_not1_b32 s36, s38, exec_lo
.LBB7_45:                               ;   in Loop: Header=BB7_49 Depth=3
	s_or_b32 exec_lo, exec_lo, s35
	s_delay_alu instid0(SALU_CYCLE_1)
	s_or_not1_b32 s35, s37, exec_lo
	s_or_not1_b32 s36, s36, exec_lo
.LBB7_46:                               ;   in Loop: Header=BB7_49 Depth=3
	s_or_b32 exec_lo, exec_lo, s34
	s_delay_alu instid0(SALU_CYCLE_1)
	s_and_b32 s35, s35, exec_lo
	s_or_not1_b32 s34, s36, exec_lo
.LBB7_47:                               ;   in Loop: Header=BB7_49 Depth=3
	s_or_b32 exec_lo, exec_lo, s33
	s_delay_alu instid0(SALU_CYCLE_1)
	s_and_not1_b32 s27, s27, exec_lo
	s_and_b32 s33, s35, exec_lo
	s_and_not1_b32 s26, s26, exec_lo
	s_and_b32 s34, s34, exec_lo
	s_or_b32 s27, s27, s33
	s_or_b32 s26, s26, s34
.LBB7_48:                               ;   in Loop: Header=BB7_49 Depth=3
	s_or_b32 exec_lo, exec_lo, s31
	s_delay_alu instid0(SALU_CYCLE_1)
	s_and_b32 s31, exec_lo, s26
	s_wait_alu 0xfffe
	s_or_b32 s24, s31, s24
	s_and_not1_b32 s25, s25, exec_lo
	s_and_b32 s31, s27, exec_lo
	s_wait_alu 0xfffe
	s_or_b32 s25, s25, s31
	s_and_not1_b32 exec_lo, exec_lo, s24
	s_cbranch_execz .LBB7_58
.LBB7_49:                               ;   Parent Loop BB7_34 Depth=1
                                        ;     Parent Loop BB7_40 Depth=2
                                        ; =>    This Inner Loop Header: Depth=3
	s_delay_alu instid0(VALU_DEP_1) | instskip(SKIP_3) | instid1(VALU_DEP_1)
	v_and_b32_e32 v18, 63, v19
	s_or_b32 s27, s27, exec_lo
	s_or_b32 s26, s26, exec_lo
	s_mov_b32 s31, exec_lo
	v_lshl_add_u32 v20, v18, 2, v13
	ds_load_b32 v20, v20
	s_wait_dscnt 0x0
	v_cmpx_ne_u32_e32 -1, v20
	s_cbranch_execz .LBB7_48
; %bb.50:                               ;   in Loop: Header=BB7_49 Depth=3
	s_mov_b32 s34, -1
	s_mov_b32 s35, 0
	s_mov_b32 s33, exec_lo
	v_cmpx_ne_u32_e64 v20, v11
	s_cbranch_execz .LBB7_47
; %bb.51:                               ;   in Loop: Header=BB7_49 Depth=3
	v_add_nc_u32_e32 v18, 1, v19
	s_mov_b32 s36, -1
	s_mov_b32 s35, -1
	s_mov_b32 s34, exec_lo
	s_delay_alu instid0(VALU_DEP_1) | instskip(NEXT) | instid1(VALU_DEP_1)
	v_and_b32_e32 v18, 63, v18
	v_lshl_add_u32 v20, v18, 2, v13
	ds_load_b32 v20, v20
	s_wait_dscnt 0x0
	v_cmpx_ne_u32_e32 -1, v20
	s_cbranch_execz .LBB7_46
; %bb.52:                               ;   in Loop: Header=BB7_49 Depth=3
	s_mov_b32 s37, 0
	s_mov_b32 s35, exec_lo
	v_cmpx_ne_u32_e64 v20, v11
	s_cbranch_execz .LBB7_45
; %bb.53:                               ;   in Loop: Header=BB7_49 Depth=3
	v_add_nc_u32_e32 v18, 2, v19
	s_mov_b32 s38, -1
	s_mov_b32 s37, -1
	s_mov_b32 s36, exec_lo
	s_delay_alu instid0(VALU_DEP_1) | instskip(NEXT) | instid1(VALU_DEP_1)
	v_and_b32_e32 v18, 63, v18
	v_lshl_add_u32 v20, v18, 2, v13
	ds_load_b32 v20, v20
	s_wait_dscnt 0x0
	v_cmpx_ne_u32_e32 -1, v20
	s_cbranch_execz .LBB7_44
; %bb.54:                               ;   in Loop: Header=BB7_49 Depth=3
	s_mov_b32 s39, 0
	s_mov_b32 s37, exec_lo
	v_cmpx_ne_u32_e64 v20, v11
	s_cbranch_execz .LBB7_43
; %bb.55:                               ;   in Loop: Header=BB7_49 Depth=3
	v_add_nc_u32_e32 v18, 3, v19
	s_mov_b32 s40, -1
	s_mov_b32 s39, -1
	s_mov_b32 s38, exec_lo
	s_delay_alu instid0(VALU_DEP_1) | instskip(NEXT) | instid1(VALU_DEP_1)
	v_and_b32_e32 v18, 63, v18
	v_lshl_add_u32 v19, v18, 2, v13
	ds_load_b32 v20, v19
                                        ; implicit-def: $vgpr19
	s_wait_dscnt 0x0
	v_cmpx_ne_u32_e32 -1, v20
	s_cbranch_execz .LBB7_42
; %bb.56:                               ;   in Loop: Header=BB7_49 Depth=3
	s_mov_b32 s39, 0
	s_mov_b32 s41, exec_lo
                                        ; implicit-def: $vgpr19
	v_cmpx_ne_u32_e64 v20, v11
	s_cbranch_execz .LBB7_41
; %bb.57:                               ;   in Loop: Header=BB7_49 Depth=3
	v_add_nc_u32_e32 v17, -4, v17
	v_add_nc_u32_e32 v19, 1, v18
	s_mov_b32 s39, exec_lo
	s_delay_alu instid0(VALU_DEP_2)
	v_cmp_eq_u32_e32 vcc_lo, 0, v17
	s_or_not1_b32 s40, vcc_lo, exec_lo
	s_branch .LBB7_41
.LBB7_58:                               ;   in Loop: Header=BB7_40 Depth=2
	s_or_b32 exec_lo, exec_lo, s24
	s_wait_alu 0xfffe
	s_xor_b32 s24, s25, -1
	s_wait_alu 0xfffe
	s_and_saveexec_b32 s25, s24
	s_wait_alu 0xfffe
	s_xor_b32 s24, exec_lo, s25
	s_cbranch_execz .LBB7_39
; %bb.59:                               ;   in Loop: Header=BB7_40 Depth=2
	v_lshl_add_u32 v11, v18, 2, v14
	v_add_co_u32 v8, vcc_lo, s8, v8
	s_wait_alu 0xfffd
	v_add_co_ci_u32_e64 v9, null, s9, v9, vcc_lo
	ds_load_b32 v17, v11
	s_wait_dscnt 0x0
	v_ashrrev_i32_e32 v18, 31, v17
	s_delay_alu instid0(VALU_DEP_1) | instskip(NEXT) | instid1(VALU_DEP_1)
	v_lshlrev_b64_e32 v[17:18], 2, v[17:18]
	v_add_co_u32 v17, vcc_lo, s8, v17
	s_wait_alu 0xfffd
	s_delay_alu instid0(VALU_DEP_2)
	v_add_co_ci_u32_e64 v18, null, s9, v18, vcc_lo
	s_clause 0x1
	global_load_b32 v8, v[8:9], off
	global_load_b32 v9, v[17:18], off
	s_wait_loadcnt 0x0
	v_fma_f32 v8, -v10, v8, v9
	global_store_b32 v[17:18], v8, off
	s_branch .LBB7_39
.LBB7_60:
	s_wait_alu 0xfffe
	s_or_b32 exec_lo, exec_lo, s2
	s_mov_b32 s5, -1
	s_mov_b32 s4, exec_lo
	s_wait_loadcnt 0x0
	s_wait_storecnt 0x0
	global_inv scope:SCOPE_SE
	v_cmpx_lt_i32_e32 -1, v5
	s_cbranch_execz .LBB7_76
; %bb.61:
	v_mov_b32_e32 v6, 0
	v_cmp_eq_u32_e64 s2, 0, v12
	s_delay_alu instid0(VALU_DEP_2) | instskip(NEXT) | instid1(VALU_DEP_1)
	v_lshlrev_b64_e32 v[5:6], 2, v[5:6]
	v_add_co_u32 v7, vcc_lo, s8, v5
	s_wait_alu 0xfffd
	s_delay_alu instid0(VALU_DEP_2)
	v_add_co_ci_u32_e64 v8, null, s9, v6, vcc_lo
	global_load_b32 v9, v[7:8], off
	s_wait_loadcnt 0x0
	v_cmp_gt_f32_e32 vcc_lo, 0, v9
	s_wait_alu 0xfffd
	v_cndmask_b32_e64 v5, v9, -v9, vcc_lo
	s_and_not1_b32 vcc_lo, exec_lo, s29
	s_delay_alu instid0(VALU_DEP_1)
	v_cvt_f64_f32_e32 v[5:6], v5
	s_wait_alu 0xfffe
	s_cbranch_vccnz .LBB7_65
; %bb.62:
	v_cvt_f64_f32_e32 v[10:11], s30
	s_cmp_eq_u64 s[20:21], 8
	s_cselect_b32 vcc_lo, -1, 0
	s_wait_alu 0xfffe
	s_delay_alu instid0(VALU_DEP_1) | instskip(NEXT) | instid1(VALU_DEP_1)
	v_dual_cndmask_b32 v3, v11, v3 :: v_dual_cndmask_b32 v2, v10, v2
	v_cmp_ge_f64_e32 vcc_lo, v[2:3], v[5:6]
	s_and_b32 s6, s2, vcc_lo
	s_wait_alu 0xfffe
	s_and_saveexec_b32 s5, s6
	s_cbranch_execz .LBB7_64
; %bb.63:
	v_mov_b32_e32 v2, s3
	global_store_b32 v[7:8], v2, off
	s_wait_storecnt 0x0
	global_inv scope:SCOPE_DEV
.LBB7_64:
	s_wait_alu 0xfffe
	s_or_b32 exec_lo, exec_lo, s5
	s_mov_b32 s5, 0
.LBB7_65:
	s_wait_alu 0xfffe
	s_and_not1_b32 vcc_lo, exec_lo, s5
	s_wait_alu 0xfffe
	s_cbranch_vccnz .LBB7_76
; %bb.66:
	s_load_b64 s[0:1], s[0:1], 0x48
	v_add_nc_u32_e32 v2, s28, v4
	s_wait_kmcnt 0x0
	s_delay_alu instid0(VALU_DEP_2)
	v_cmp_ge_f64_e32 vcc_lo, s[0:1], v[5:6]
	s_and_b32 s1, s2, vcc_lo
	s_wait_alu 0xfffe
	s_and_saveexec_b32 s0, s1
	s_cbranch_execz .LBB7_71
; %bb.67:
	s_mov_b32 s3, exec_lo
	s_brev_b32 s1, -2
.LBB7_68:                               ; =>This Inner Loop Header: Depth=1
	s_wait_alu 0xfffe
	s_ctz_i32_b32 s5, s3
	s_wait_alu 0xfffe
	v_readlane_b32 s6, v2, s5
	s_lshl_b32 s5, 1, s5
	s_wait_alu 0xfffe
	s_and_not1_b32 s3, s3, s5
	s_min_i32 s1, s1, s6
	s_wait_alu 0xfffe
	s_cmp_lg_u32 s3, 0
	s_cbranch_scc1 .LBB7_68
; %bb.69:
	v_mbcnt_lo_u32_b32 v3, exec_lo, 0
	s_mov_b32 s3, exec_lo
	s_delay_alu instid0(VALU_DEP_1)
	v_cmpx_eq_u32_e32 0, v3
	s_wait_alu 0xfffe
	s_xor_b32 s3, exec_lo, s3
	s_cbranch_execz .LBB7_71
; %bb.70:
	v_dual_mov_b32 v3, 0 :: v_dual_mov_b32 v4, s1
	global_atomic_min_i32 v3, v4, s[18:19] scope:SCOPE_DEV
.LBB7_71:
	s_wait_alu 0xfffe
	s_or_b32 exec_lo, exec_lo, s0
	v_cmp_eq_f32_e32 vcc_lo, 0, v9
	s_and_b32 s0, s2, vcc_lo
	s_wait_alu 0xfffe
	s_and_b32 exec_lo, exec_lo, s0
	s_cbranch_execz .LBB7_76
; %bb.72:
	s_mov_b32 s1, exec_lo
	s_brev_b32 s0, -2
.LBB7_73:                               ; =>This Inner Loop Header: Depth=1
	s_wait_alu 0xfffe
	s_ctz_i32_b32 s2, s1
	s_wait_alu 0xfffe
	v_readlane_b32 s3, v2, s2
	s_lshl_b32 s2, 1, s2
	s_wait_alu 0xfffe
	s_and_not1_b32 s1, s1, s2
	s_min_i32 s0, s0, s3
	s_wait_alu 0xfffe
	s_cmp_lg_u32 s1, 0
	s_cbranch_scc1 .LBB7_73
; %bb.74:
	v_mbcnt_lo_u32_b32 v2, exec_lo, 0
	s_mov_b32 s1, exec_lo
	s_delay_alu instid0(VALU_DEP_1)
	v_cmpx_eq_u32_e32 0, v2
	s_wait_alu 0xfffe
	s_xor_b32 s1, exec_lo, s1
	s_cbranch_execz .LBB7_76
; %bb.75:
	v_dual_mov_b32 v2, 0 :: v_dual_mov_b32 v3, s0
	global_atomic_min_i32 v2, v3, s[16:17] scope:SCOPE_DEV
.LBB7_76:
	s_wait_alu 0xfffe
	s_or_b32 exec_lo, exec_lo, s4
	v_cmp_eq_u32_e32 vcc_lo, 0, v12
	s_wait_loadcnt 0x0
	s_wait_storecnt 0x0
	global_inv scope:SCOPE_DEV
	s_and_b32 exec_lo, exec_lo, vcc_lo
	s_cbranch_execz .LBB7_78
; %bb.77:
	v_add_co_u32 v0, vcc_lo, s12, v0
	s_wait_alu 0xfffd
	v_add_co_ci_u32_e64 v1, null, s13, v1, vcc_lo
	v_mov_b32_e32 v2, 1
	s_wait_loadcnt 0x0
	global_store_b32 v[0:1], v2, off scope:SCOPE_DEV
.LBB7_78:
	s_endpgm
	.section	.rodata,"a",@progbits
	.p2align	6, 0x0
	.amdhsa_kernel _ZN9rocsparseL12csrilu0_hashILj256ELj64ELj1EfEEviPKiS2_PT2_S2_PiS2_S5_S5_d21rocsparse_index_base_imNS_24const_host_device_scalarIfEENS7_IdEENS7_IS3_EEb
		.amdhsa_group_segment_fixed_size 2048
		.amdhsa_private_segment_fixed_size 0
		.amdhsa_kernarg_size 124
		.amdhsa_user_sgpr_count 2
		.amdhsa_user_sgpr_dispatch_ptr 0
		.amdhsa_user_sgpr_queue_ptr 0
		.amdhsa_user_sgpr_kernarg_segment_ptr 1
		.amdhsa_user_sgpr_dispatch_id 0
		.amdhsa_user_sgpr_private_segment_size 0
		.amdhsa_wavefront_size32 1
		.amdhsa_uses_dynamic_stack 0
		.amdhsa_enable_private_segment 0
		.amdhsa_system_sgpr_workgroup_id_x 1
		.amdhsa_system_sgpr_workgroup_id_y 0
		.amdhsa_system_sgpr_workgroup_id_z 0
		.amdhsa_system_sgpr_workgroup_info 0
		.amdhsa_system_vgpr_workitem_id 0
		.amdhsa_next_free_vgpr 22
		.amdhsa_next_free_sgpr 42
		.amdhsa_reserve_vcc 1
		.amdhsa_float_round_mode_32 0
		.amdhsa_float_round_mode_16_64 0
		.amdhsa_float_denorm_mode_32 3
		.amdhsa_float_denorm_mode_16_64 3
		.amdhsa_fp16_overflow 0
		.amdhsa_workgroup_processor_mode 1
		.amdhsa_memory_ordered 1
		.amdhsa_forward_progress 1
		.amdhsa_inst_pref_size 25
		.amdhsa_round_robin_scheduling 0
		.amdhsa_exception_fp_ieee_invalid_op 0
		.amdhsa_exception_fp_denorm_src 0
		.amdhsa_exception_fp_ieee_div_zero 0
		.amdhsa_exception_fp_ieee_overflow 0
		.amdhsa_exception_fp_ieee_underflow 0
		.amdhsa_exception_fp_ieee_inexact 0
		.amdhsa_exception_int_div_zero 0
	.end_amdhsa_kernel
	.section	.text._ZN9rocsparseL12csrilu0_hashILj256ELj64ELj1EfEEviPKiS2_PT2_S2_PiS2_S5_S5_d21rocsparse_index_base_imNS_24const_host_device_scalarIfEENS7_IdEENS7_IS3_EEb,"axG",@progbits,_ZN9rocsparseL12csrilu0_hashILj256ELj64ELj1EfEEviPKiS2_PT2_S2_PiS2_S5_S5_d21rocsparse_index_base_imNS_24const_host_device_scalarIfEENS7_IdEENS7_IS3_EEb,comdat
.Lfunc_end7:
	.size	_ZN9rocsparseL12csrilu0_hashILj256ELj64ELj1EfEEviPKiS2_PT2_S2_PiS2_S5_S5_d21rocsparse_index_base_imNS_24const_host_device_scalarIfEENS7_IdEENS7_IS3_EEb, .Lfunc_end7-_ZN9rocsparseL12csrilu0_hashILj256ELj64ELj1EfEEviPKiS2_PT2_S2_PiS2_S5_S5_d21rocsparse_index_base_imNS_24const_host_device_scalarIfEENS7_IdEENS7_IS3_EEb
                                        ; -- End function
	.set _ZN9rocsparseL12csrilu0_hashILj256ELj64ELj1EfEEviPKiS2_PT2_S2_PiS2_S5_S5_d21rocsparse_index_base_imNS_24const_host_device_scalarIfEENS7_IdEENS7_IS3_EEb.num_vgpr, 22
	.set _ZN9rocsparseL12csrilu0_hashILj256ELj64ELj1EfEEviPKiS2_PT2_S2_PiS2_S5_S5_d21rocsparse_index_base_imNS_24const_host_device_scalarIfEENS7_IdEENS7_IS3_EEb.num_agpr, 0
	.set _ZN9rocsparseL12csrilu0_hashILj256ELj64ELj1EfEEviPKiS2_PT2_S2_PiS2_S5_S5_d21rocsparse_index_base_imNS_24const_host_device_scalarIfEENS7_IdEENS7_IS3_EEb.numbered_sgpr, 42
	.set _ZN9rocsparseL12csrilu0_hashILj256ELj64ELj1EfEEviPKiS2_PT2_S2_PiS2_S5_S5_d21rocsparse_index_base_imNS_24const_host_device_scalarIfEENS7_IdEENS7_IS3_EEb.num_named_barrier, 0
	.set _ZN9rocsparseL12csrilu0_hashILj256ELj64ELj1EfEEviPKiS2_PT2_S2_PiS2_S5_S5_d21rocsparse_index_base_imNS_24const_host_device_scalarIfEENS7_IdEENS7_IS3_EEb.private_seg_size, 0
	.set _ZN9rocsparseL12csrilu0_hashILj256ELj64ELj1EfEEviPKiS2_PT2_S2_PiS2_S5_S5_d21rocsparse_index_base_imNS_24const_host_device_scalarIfEENS7_IdEENS7_IS3_EEb.uses_vcc, 1
	.set _ZN9rocsparseL12csrilu0_hashILj256ELj64ELj1EfEEviPKiS2_PT2_S2_PiS2_S5_S5_d21rocsparse_index_base_imNS_24const_host_device_scalarIfEENS7_IdEENS7_IS3_EEb.uses_flat_scratch, 0
	.set _ZN9rocsparseL12csrilu0_hashILj256ELj64ELj1EfEEviPKiS2_PT2_S2_PiS2_S5_S5_d21rocsparse_index_base_imNS_24const_host_device_scalarIfEENS7_IdEENS7_IS3_EEb.has_dyn_sized_stack, 0
	.set _ZN9rocsparseL12csrilu0_hashILj256ELj64ELj1EfEEviPKiS2_PT2_S2_PiS2_S5_S5_d21rocsparse_index_base_imNS_24const_host_device_scalarIfEENS7_IdEENS7_IS3_EEb.has_recursion, 0
	.set _ZN9rocsparseL12csrilu0_hashILj256ELj64ELj1EfEEviPKiS2_PT2_S2_PiS2_S5_S5_d21rocsparse_index_base_imNS_24const_host_device_scalarIfEENS7_IdEENS7_IS3_EEb.has_indirect_call, 0
	.section	.AMDGPU.csdata,"",@progbits
; Kernel info:
; codeLenInByte = 3076
; TotalNumSgprs: 44
; NumVgprs: 22
; ScratchSize: 0
; MemoryBound: 0
; FloatMode: 240
; IeeeMode: 1
; LDSByteSize: 2048 bytes/workgroup (compile time only)
; SGPRBlocks: 0
; VGPRBlocks: 2
; NumSGPRsForWavesPerEU: 44
; NumVGPRsForWavesPerEU: 22
; Occupancy: 16
; WaveLimiterHint : 1
; COMPUTE_PGM_RSRC2:SCRATCH_EN: 0
; COMPUTE_PGM_RSRC2:USER_SGPR: 2
; COMPUTE_PGM_RSRC2:TRAP_HANDLER: 0
; COMPUTE_PGM_RSRC2:TGID_X_EN: 1
; COMPUTE_PGM_RSRC2:TGID_Y_EN: 0
; COMPUTE_PGM_RSRC2:TGID_Z_EN: 0
; COMPUTE_PGM_RSRC2:TIDIG_COMP_CNT: 0
	.section	.text._ZN9rocsparseL12csrilu0_hashILj256ELj64ELj2EfEEviPKiS2_PT2_S2_PiS2_S5_S5_d21rocsparse_index_base_imNS_24const_host_device_scalarIfEENS7_IdEENS7_IS3_EEb,"axG",@progbits,_ZN9rocsparseL12csrilu0_hashILj256ELj64ELj2EfEEviPKiS2_PT2_S2_PiS2_S5_S5_d21rocsparse_index_base_imNS_24const_host_device_scalarIfEENS7_IdEENS7_IS3_EEb,comdat
	.globl	_ZN9rocsparseL12csrilu0_hashILj256ELj64ELj2EfEEviPKiS2_PT2_S2_PiS2_S5_S5_d21rocsparse_index_base_imNS_24const_host_device_scalarIfEENS7_IdEENS7_IS3_EEb ; -- Begin function _ZN9rocsparseL12csrilu0_hashILj256ELj64ELj2EfEEviPKiS2_PT2_S2_PiS2_S5_S5_d21rocsparse_index_base_imNS_24const_host_device_scalarIfEENS7_IdEENS7_IS3_EEb
	.p2align	8
	.type	_ZN9rocsparseL12csrilu0_hashILj256ELj64ELj2EfEEviPKiS2_PT2_S2_PiS2_S5_S5_d21rocsparse_index_base_imNS_24const_host_device_scalarIfEENS7_IdEENS7_IS3_EEb,@function
_ZN9rocsparseL12csrilu0_hashILj256ELj64ELj2EfEEviPKiS2_PT2_S2_PiS2_S5_S5_d21rocsparse_index_base_imNS_24const_host_device_scalarIfEENS7_IdEENS7_IS3_EEb: ; @_ZN9rocsparseL12csrilu0_hashILj256ELj64ELj2EfEEviPKiS2_PT2_S2_PiS2_S5_S5_d21rocsparse_index_base_imNS_24const_host_device_scalarIfEENS7_IdEENS7_IS3_EEb
; %bb.0:
	s_clause 0x2
	s_load_b32 s2, s[0:1], 0x78
	s_load_b64 s[28:29], s[0:1], 0x50
	s_load_b256 s[20:27], s[0:1], 0x58
	s_wait_kmcnt 0x0
	s_bitcmp1_b32 s2, 0
	s_cselect_b32 s2, -1, 0
	s_cmp_eq_u32 s29, 0
	s_cselect_b32 s4, -1, 0
	s_cmp_lg_u32 s29, 0
	s_cselect_b32 s29, -1, 0
	s_or_b32 s6, s4, s2
	s_delay_alu instid0(SALU_CYCLE_1)
	s_xor_b32 s5, s6, -1
	s_and_b32 s2, s4, exec_lo
	s_cselect_b32 s3, 0, s25
	s_cselect_b32 s2, 0, s24
	;; [unrolled: 1-line block ×3, first 2 shown]
	s_and_b32 vcc_lo, exec_lo, s6
	s_cbranch_vccnz .LBB8_2
; %bb.1:
	s_load_b32 s30, s[22:23], 0x0
	s_mov_b64 s[2:3], s[24:25]
.LBB8_2:
	v_cndmask_b32_e64 v1, 0, 1, s5
	v_dual_mov_b32 v4, s3 :: v_dual_mov_b32 v3, s2
	s_and_not1_b32 vcc_lo, exec_lo, s5
	s_cbranch_vccnz .LBB8_4
; %bb.3:
	v_dual_mov_b32 v2, s24 :: v_dual_mov_b32 v3, s25
	flat_load_b64 v[3:4], v[2:3]
.LBB8_4:
	s_delay_alu instid0(VALU_DEP_2)
	v_cmp_ne_u32_e32 vcc_lo, 1, v1
	s_and_b32 s2, s4, exec_lo
	s_cselect_b32 s3, 0, s26
	s_mov_b32 s2, 0
	s_cbranch_vccnz .LBB8_6
; %bb.5:
	s_load_b32 s3, s[26:27], 0x0
.LBB8_6:
	v_lshrrev_b32_e32 v1, 6, v0
	v_and_b32_e32 v13, 63, v0
	s_delay_alu instid0(VALU_DEP_2) | instskip(NEXT) | instid1(VALU_DEP_2)
	v_lshlrev_b32_e32 v5, 9, v1
	v_lshlrev_b32_e32 v6, 2, v13
	s_delay_alu instid0(VALU_DEP_1)
	v_or3_b32 v5, v5, v6, 0x800
	v_mov_b32_e32 v6, -1
	v_or_b32_e32 v2, 0xffffffc0, v13
.LBB8_7:                                ; =>This Inner Loop Header: Depth=1
	s_delay_alu instid0(VALU_DEP_1)
	v_add_co_u32 v2, s4, v2, 64
	s_xor_b32 s4, s4, -1
	ds_store_b32 v5, v6
	v_add_nc_u32_e32 v5, 0x100, v5
	s_wait_alu 0xfffe
	s_and_b32 s4, exec_lo, s4
	s_wait_alu 0xfffe
	s_or_b32 s2, s4, s2
	s_wait_alu 0xfffe
	s_and_not1_b32 exec_lo, exec_lo, s2
	s_cbranch_execnz .LBB8_7
; %bb.8:
	s_or_b32 exec_lo, exec_lo, s2
	s_load_b32 s2, s[0:1], 0x0
	s_lshl_b32 s4, ttmp9, 2
	s_wait_loadcnt_dscnt 0x0
	global_inv scope:SCOPE_SE
	s_wait_alu 0xfffe
	v_and_or_b32 v1, 0x3fffffc, s4, v1
	s_wait_kmcnt 0x0
	s_delay_alu instid0(VALU_DEP_1)
	v_cmp_gt_i32_e32 vcc_lo, s2, v1
	s_and_saveexec_b32 s2, vcc_lo
	s_cbranch_execz .LBB8_80
; %bb.9:
	s_load_b512 s[4:19], s[0:1], 0x8
	v_lshlrev_b32_e32 v1, 2, v1
	v_lshlrev_b32_e32 v0, 3, v0
	s_mov_b32 s2, exec_lo
	s_delay_alu instid0(VALU_DEP_1) | instskip(NEXT) | instid1(VALU_DEP_1)
	v_and_b32_e32 v0, 0x600, v0
	v_or_b32_e32 v14, 0x800, v0
	s_wait_kmcnt 0x0
	global_load_b32 v5, v1, s[14:15]
	s_wait_loadcnt 0x0
	v_ashrrev_i32_e32 v6, 31, v5
	s_delay_alu instid0(VALU_DEP_1) | instskip(NEXT) | instid1(VALU_DEP_1)
	v_lshlrev_b64_e32 v[1:2], 2, v[5:6]
	v_add_co_u32 v6, vcc_lo, s4, v1
	s_delay_alu instid0(VALU_DEP_1)
	v_add_co_ci_u32_e64 v7, null, s5, v2, vcc_lo
	v_add_co_u32 v9, vcc_lo, s10, v1
	s_wait_alu 0xfffd
	v_add_co_ci_u32_e64 v10, null, s11, v2, vcc_lo
	global_load_b64 v[7:8], v[6:7], off
	global_load_b32 v6, v[9:10], off
	s_wait_loadcnt 0x1
	v_subrev_nc_u32_e32 v7, s28, v7
	v_subrev_nc_u32_e32 v10, s28, v8
	s_delay_alu instid0(VALU_DEP_2) | instskip(NEXT) | instid1(VALU_DEP_1)
	v_add_nc_u32_e32 v8, v7, v13
	v_cmpx_lt_i32_e64 v8, v10
	s_cbranch_execz .LBB8_32
; %bb.10:
	v_mov_b32_e32 v11, -1
	s_mov_b32 s14, 0
	s_branch .LBB8_12
.LBB8_11:                               ;   in Loop: Header=BB8_12 Depth=1
	s_or_b32 exec_lo, exec_lo, s15
	v_add_nc_u32_e32 v8, 64, v8
	s_delay_alu instid0(VALU_DEP_1) | instskip(SKIP_1) | instid1(SALU_CYCLE_1)
	v_cmp_ge_i32_e32 vcc_lo, v8, v10
	s_or_b32 s14, vcc_lo, s14
	s_and_not1_b32 exec_lo, exec_lo, s14
	s_cbranch_execz .LBB8_32
.LBB8_12:                               ; =>This Loop Header: Depth=1
                                        ;     Child Loop BB8_21 Depth 2
	v_ashrrev_i32_e32 v9, 31, v8
	v_mov_b32_e32 v12, 0x80
	s_mov_b32 s15, 0
                                        ; implicit-def: $sgpr22
                                        ; implicit-def: $sgpr23
                                        ; implicit-def: $sgpr24
	s_delay_alu instid0(VALU_DEP_2) | instskip(NEXT) | instid1(VALU_DEP_1)
	v_lshlrev_b64_e32 v[15:16], 2, v[8:9]
	v_add_co_u32 v15, vcc_lo, s6, v15
	s_wait_alu 0xfffd
	s_delay_alu instid0(VALU_DEP_2)
	v_add_co_ci_u32_e64 v16, null, s7, v16, vcc_lo
	global_load_b32 v9, v[15:16], off
	s_wait_loadcnt 0x0
	v_mul_lo_u32 v16, 0x67, v9
	s_branch .LBB8_21
.LBB8_13:                               ;   in Loop: Header=BB8_21 Depth=2
	s_or_b32 exec_lo, exec_lo, s38
	s_delay_alu instid0(SALU_CYCLE_1)
	s_or_not1_b32 s36, s36, exec_lo
	s_or_not1_b32 s37, s37, exec_lo
.LBB8_14:                               ;   in Loop: Header=BB8_21 Depth=2
	s_or_b32 exec_lo, exec_lo, s35
	s_delay_alu instid0(SALU_CYCLE_1)
	s_and_b32 s36, s36, exec_lo
	s_or_not1_b32 s35, s37, exec_lo
.LBB8_15:                               ;   in Loop: Header=BB8_21 Depth=2
	s_or_b32 exec_lo, exec_lo, s34
	s_delay_alu instid0(SALU_CYCLE_1)
	s_or_not1_b32 s34, s36, exec_lo
	s_or_not1_b32 s35, s35, exec_lo
.LBB8_16:                               ;   in Loop: Header=BB8_21 Depth=2
	s_or_b32 exec_lo, exec_lo, s33
	s_delay_alu instid0(SALU_CYCLE_1)
	s_and_b32 s34, s34, exec_lo
	s_or_not1_b32 s33, s35, exec_lo
.LBB8_17:                               ;   in Loop: Header=BB8_21 Depth=2
	s_or_b32 exec_lo, exec_lo, s31
	s_delay_alu instid0(SALU_CYCLE_1)
	s_or_not1_b32 s31, s34, exec_lo
	s_or_not1_b32 s33, s33, exec_lo
.LBB8_18:                               ;   in Loop: Header=BB8_21 Depth=2
	s_or_b32 exec_lo, exec_lo, s27
	s_delay_alu instid0(SALU_CYCLE_1)
	s_and_b32 s31, s31, exec_lo
	s_or_not1_b32 s27, s33, exec_lo
.LBB8_19:                               ;   in Loop: Header=BB8_21 Depth=2
	s_or_b32 exec_lo, exec_lo, s26
	s_wait_alu 0xfffe
	s_and_not1_b32 s24, s24, exec_lo
	s_and_b32 s26, s31, exec_lo
	s_and_not1_b32 s23, s23, exec_lo
	s_and_b32 s27, s27, exec_lo
	s_wait_alu 0xfffe
	s_or_b32 s24, s24, s26
	s_or_b32 s23, s23, s27
.LBB8_20:                               ;   in Loop: Header=BB8_21 Depth=2
	s_wait_alu 0xfffe
	s_or_b32 exec_lo, exec_lo, s25
	s_delay_alu instid0(SALU_CYCLE_1)
	s_and_b32 s25, exec_lo, s23
	s_wait_alu 0xfffe
	s_or_b32 s15, s25, s15
	s_and_not1_b32 s22, s22, exec_lo
	s_and_b32 s25, s24, exec_lo
	s_wait_alu 0xfffe
	s_or_b32 s22, s22, s25
	s_and_not1_b32 exec_lo, exec_lo, s15
	s_cbranch_execz .LBB8_30
.LBB8_21:                               ;   Parent Loop BB8_12 Depth=1
                                        ; =>  This Inner Loop Header: Depth=2
	s_delay_alu instid0(VALU_DEP_1) | instskip(SKIP_3) | instid1(VALU_DEP_1)
	v_and_b32_e32 v15, 0x7f, v16
	s_or_b32 s24, s24, exec_lo
	s_or_b32 s23, s23, exec_lo
	s_mov_b32 s25, exec_lo
	v_lshl_add_u32 v17, v15, 2, v14
	ds_load_b32 v18, v17
	s_wait_dscnt 0x0
	v_cmpx_ne_u32_e64 v18, v9
	s_cbranch_execz .LBB8_20
; %bb.22:                               ;   in Loop: Header=BB8_21 Depth=2
	ds_cmpstore_rtn_b32 v17, v17, v9, v11
	s_mov_b32 s27, -1
	s_mov_b32 s31, 0
	s_mov_b32 s26, exec_lo
	s_wait_dscnt 0x0
	v_cmpx_ne_u32_e32 -1, v17
	s_cbranch_execz .LBB8_19
; %bb.23:                               ;   in Loop: Header=BB8_21 Depth=2
	v_add_nc_u32_e32 v15, 1, v16
	s_mov_b32 s33, -1
	s_mov_b32 s31, -1
	s_mov_b32 s27, exec_lo
	s_delay_alu instid0(VALU_DEP_1) | instskip(NEXT) | instid1(VALU_DEP_1)
	v_and_b32_e32 v15, 0x7f, v15
	v_lshl_add_u32 v17, v15, 2, v14
	ds_load_b32 v18, v17
	s_wait_dscnt 0x0
	v_cmpx_ne_u32_e64 v18, v9
	s_cbranch_execz .LBB8_18
; %bb.24:                               ;   in Loop: Header=BB8_21 Depth=2
	ds_cmpstore_rtn_b32 v17, v17, v9, v11
	s_mov_b32 s34, 0
	s_mov_b32 s31, exec_lo
	s_wait_dscnt 0x0
	v_cmpx_ne_u32_e32 -1, v17
	s_cbranch_execz .LBB8_17
; %bb.25:                               ;   in Loop: Header=BB8_21 Depth=2
	v_add_nc_u32_e32 v15, 2, v16
	s_mov_b32 s35, -1
	s_mov_b32 s34, -1
	s_mov_b32 s33, exec_lo
	s_delay_alu instid0(VALU_DEP_1) | instskip(NEXT) | instid1(VALU_DEP_1)
	v_and_b32_e32 v15, 0x7f, v15
	v_lshl_add_u32 v17, v15, 2, v14
	ds_load_b32 v18, v17
	s_wait_dscnt 0x0
	v_cmpx_ne_u32_e64 v18, v9
	s_cbranch_execz .LBB8_16
; %bb.26:                               ;   in Loop: Header=BB8_21 Depth=2
	ds_cmpstore_rtn_b32 v17, v17, v9, v11
	s_mov_b32 s36, 0
	s_mov_b32 s34, exec_lo
	s_wait_dscnt 0x0
	v_cmpx_ne_u32_e32 -1, v17
	s_cbranch_execz .LBB8_15
; %bb.27:                               ;   in Loop: Header=BB8_21 Depth=2
	v_add_nc_u32_e32 v15, 3, v16
	s_mov_b32 s37, -1
	s_mov_b32 s36, -1
	s_delay_alu instid0(VALU_DEP_1) | instskip(NEXT) | instid1(VALU_DEP_1)
	v_and_b32_e32 v15, 0x7f, v15
	v_lshl_add_u32 v17, v15, 2, v14
	ds_load_b32 v16, v17
	s_wait_dscnt 0x0
	v_cmp_ne_u32_e32 vcc_lo, v16, v9
                                        ; implicit-def: $vgpr16
	s_and_saveexec_b32 s35, vcc_lo
	s_cbranch_execz .LBB8_14
; %bb.28:                               ;   in Loop: Header=BB8_21 Depth=2
	ds_cmpstore_rtn_b32 v16, v17, v9, v11
	s_mov_b32 s36, 0
	s_wait_dscnt 0x0
	v_cmp_ne_u32_e32 vcc_lo, -1, v16
                                        ; implicit-def: $vgpr16
	s_and_saveexec_b32 s38, vcc_lo
	s_cbranch_execz .LBB8_13
; %bb.29:                               ;   in Loop: Header=BB8_21 Depth=2
	v_add_nc_u32_e32 v12, -4, v12
	v_add_nc_u32_e32 v16, 1, v15
	s_mov_b32 s36, exec_lo
	s_delay_alu instid0(VALU_DEP_2)
	v_cmp_eq_u32_e32 vcc_lo, 0, v12
	s_or_not1_b32 s37, vcc_lo, exec_lo
	s_branch .LBB8_13
.LBB8_30:                               ;   in Loop: Header=BB8_12 Depth=1
	s_or_b32 exec_lo, exec_lo, s15
	s_xor_b32 s15, s22, -1
	s_delay_alu instid0(SALU_CYCLE_1) | instskip(NEXT) | instid1(SALU_CYCLE_1)
	s_and_saveexec_b32 s22, s15
	s_xor_b32 s15, exec_lo, s22
	s_cbranch_execz .LBB8_11
; %bb.31:                               ;   in Loop: Header=BB8_12 Depth=1
	v_lshl_add_u32 v9, v15, 2, v0
	ds_store_b32 v9, v8
	s_branch .LBB8_11
.LBB8_32:
	s_wait_alu 0xfffe
	s_or_b32 exec_lo, exec_lo, s2
	s_delay_alu instid0(SALU_CYCLE_1)
	s_mov_b32 s2, exec_lo
	s_wait_loadcnt_dscnt 0x0
	global_inv scope:SCOPE_SE
	v_cmpx_lt_i32_e64 v7, v6
	s_cbranch_execz .LBB8_62
; %bb.33:
	v_add_nc_u32_e32 v15, 1, v13
	s_mov_b32 s14, 0
	s_branch .LBB8_36
.LBB8_34:                               ;   in Loop: Header=BB8_36 Depth=1
	s_or_b32 exec_lo, exec_lo, s22
	v_add_nc_u32_e32 v7, 1, v7
	s_delay_alu instid0(VALU_DEP_1)
	v_cmp_ge_i32_e32 vcc_lo, v7, v6
	s_or_not1_b32 s22, vcc_lo, exec_lo
.LBB8_35:                               ;   in Loop: Header=BB8_36 Depth=1
	s_or_b32 exec_lo, exec_lo, s15
	s_delay_alu instid0(SALU_CYCLE_1) | instskip(NEXT) | instid1(SALU_CYCLE_1)
	s_and_b32 s15, exec_lo, s22
	s_or_b32 s14, s15, s14
	s_delay_alu instid0(SALU_CYCLE_1)
	s_and_not1_b32 exec_lo, exec_lo, s14
	s_cbranch_execz .LBB8_62
.LBB8_36:                               ; =>This Loop Header: Depth=1
                                        ;     Child Loop BB8_37 Depth 2
                                        ;     Child Loop BB8_42 Depth 2
                                        ;       Child Loop BB8_51 Depth 3
	v_ashrrev_i32_e32 v8, 31, v7
	s_mov_b32 s15, 0
	s_delay_alu instid0(VALU_DEP_1) | instskip(NEXT) | instid1(VALU_DEP_1)
	v_lshlrev_b64_e32 v[9:10], 2, v[7:8]
	v_add_co_u32 v11, vcc_lo, s6, v9
	s_wait_alu 0xfffd
	s_delay_alu instid0(VALU_DEP_2)
	v_add_co_ci_u32_e64 v12, null, s7, v10, vcc_lo
	v_add_co_u32 v9, vcc_lo, s8, v9
	s_wait_alu 0xfffd
	v_add_co_ci_u32_e64 v10, null, s9, v10, vcc_lo
	global_load_b32 v8, v[11:12], off
	s_wait_loadcnt 0x0
	v_subrev_nc_u32_e32 v11, s28, v8
	s_delay_alu instid0(VALU_DEP_1) | instskip(NEXT) | instid1(VALU_DEP_1)
	v_ashrrev_i32_e32 v12, 31, v11
	v_lshlrev_b64_e32 v[11:12], 2, v[11:12]
	s_delay_alu instid0(VALU_DEP_1) | instskip(SKIP_1) | instid1(VALU_DEP_2)
	v_add_co_u32 v18, vcc_lo, s4, v11
	s_wait_alu 0xfffd
	v_add_co_ci_u32_e64 v19, null, s5, v12, vcc_lo
	v_add_co_u32 v20, vcc_lo, s10, v11
	s_wait_alu 0xfffd
	v_add_co_ci_u32_e64 v21, null, s11, v12, vcc_lo
	global_load_b32 v17, v[9:10], off
	global_load_b32 v8, v[18:19], off offset:4
	global_load_b32 v18, v[20:21], off
	v_add_co_u32 v11, vcc_lo, s12, v11
	s_wait_alu 0xfffd
	v_add_co_ci_u32_e64 v12, null, s13, v12, vcc_lo
.LBB8_37:                               ;   Parent Loop BB8_36 Depth=1
                                        ; =>  This Inner Loop Header: Depth=2
	global_load_b32 v16, v[11:12], off scope:SCOPE_DEV
	s_wait_loadcnt 0x0
	v_cmp_ne_u32_e32 vcc_lo, 0, v16
	s_or_b32 s15, vcc_lo, s15
	s_delay_alu instid0(SALU_CYCLE_1)
	s_and_not1_b32 exec_lo, exec_lo, s15
	s_cbranch_execnz .LBB8_37
; %bb.38:                               ;   in Loop: Header=BB8_36 Depth=1
	s_or_b32 exec_lo, exec_lo, s15
	v_subrev_nc_u32_e32 v16, s28, v8
	v_cmp_eq_u32_e32 vcc_lo, -1, v18
	global_inv scope:SCOPE_DEV
	s_mov_b32 s22, -1
	s_mov_b32 s15, exec_lo
	v_add_nc_u32_e32 v8, -1, v16
	s_wait_alu 0xfffd
	s_delay_alu instid0(VALU_DEP_1) | instskip(NEXT) | instid1(VALU_DEP_1)
	v_cndmask_b32_e32 v11, v18, v8, vcc_lo
	v_ashrrev_i32_e32 v12, 31, v11
	s_delay_alu instid0(VALU_DEP_1) | instskip(NEXT) | instid1(VALU_DEP_1)
	v_lshlrev_b64_e32 v[18:19], 2, v[11:12]
	v_add_co_u32 v18, vcc_lo, s8, v18
	s_wait_alu 0xfffd
	s_delay_alu instid0(VALU_DEP_2)
	v_add_co_ci_u32_e64 v19, null, s9, v19, vcc_lo
	global_load_b32 v12, v[18:19], off
	s_wait_loadcnt 0x0
	v_cmpx_neq_f32_e32 0, v12
	s_cbranch_execz .LBB8_35
; %bb.39:                               ;   in Loop: Header=BB8_36 Depth=1
	v_div_scale_f32 v8, null, v12, v12, v17
	s_mov_b32 s22, exec_lo
	v_rcp_f32_e32 v18, v8
	s_delay_alu instid0(TRANS32_DEP_1) | instskip(NEXT) | instid1(VALU_DEP_1)
	v_fma_f32 v19, -v8, v18, 1.0
	v_fmac_f32_e32 v18, v19, v18
	v_div_scale_f32 v19, vcc_lo, v17, v12, v17
	s_delay_alu instid0(VALU_DEP_1) | instskip(NEXT) | instid1(VALU_DEP_1)
	v_mul_f32_e32 v20, v19, v18
	v_fma_f32 v21, -v8, v20, v19
	s_delay_alu instid0(VALU_DEP_1) | instskip(NEXT) | instid1(VALU_DEP_1)
	v_fmac_f32_e32 v20, v21, v18
	v_fma_f32 v8, -v8, v20, v19
	s_wait_alu 0xfffd
	s_delay_alu instid0(VALU_DEP_1) | instskip(SKIP_1) | instid1(VALU_DEP_2)
	v_div_fmas_f32 v18, v8, v18, v20
	v_add_nc_u32_e32 v8, v15, v11
	v_div_fixup_f32 v11, v18, v12, v17
	global_store_b32 v[9:10], v11, off
	v_cmpx_lt_i32_e64 v8, v16
	s_cbranch_execz .LBB8_34
; %bb.40:                               ;   in Loop: Header=BB8_36 Depth=1
	s_mov_b32 s23, 0
	s_branch .LBB8_42
.LBB8_41:                               ;   in Loop: Header=BB8_42 Depth=2
	s_wait_alu 0xfffe
	s_or_b32 exec_lo, exec_lo, s24
	v_add_nc_u32_e32 v8, 64, v8
	s_delay_alu instid0(VALU_DEP_1) | instskip(SKIP_1) | instid1(SALU_CYCLE_1)
	v_cmp_ge_i32_e32 vcc_lo, v8, v16
	s_or_b32 s23, vcc_lo, s23
	s_and_not1_b32 exec_lo, exec_lo, s23
	s_cbranch_execz .LBB8_34
.LBB8_42:                               ;   Parent Loop BB8_36 Depth=1
                                        ; =>  This Loop Header: Depth=2
                                        ;       Child Loop BB8_51 Depth 3
	v_ashrrev_i32_e32 v9, 31, v8
	s_mov_b32 s24, 0
                                        ; implicit-def: $sgpr25
                                        ; implicit-def: $sgpr26
                                        ; implicit-def: $sgpr27
	s_delay_alu instid0(VALU_DEP_1) | instskip(NEXT) | instid1(VALU_DEP_1)
	v_lshlrev_b64_e32 v[9:10], 2, v[8:9]
	v_add_co_u32 v17, vcc_lo, s6, v9
	s_wait_alu 0xfffd
	s_delay_alu instid0(VALU_DEP_2)
	v_add_co_ci_u32_e64 v18, null, s7, v10, vcc_lo
	global_load_b32 v12, v[17:18], off
	v_mov_b32_e32 v17, 0x80
	s_wait_loadcnt 0x0
	v_mul_lo_u32 v19, 0x67, v12
	s_branch .LBB8_51
.LBB8_43:                               ;   in Loop: Header=BB8_51 Depth=3
	s_or_b32 exec_lo, exec_lo, s41
	s_delay_alu instid0(SALU_CYCLE_1)
	s_or_not1_b32 s39, s39, exec_lo
	s_or_not1_b32 s40, s40, exec_lo
.LBB8_44:                               ;   in Loop: Header=BB8_51 Depth=3
	s_or_b32 exec_lo, exec_lo, s38
	s_delay_alu instid0(SALU_CYCLE_1)
	s_and_b32 s39, s39, exec_lo
	s_or_not1_b32 s38, s40, exec_lo
.LBB8_45:                               ;   in Loop: Header=BB8_51 Depth=3
	s_or_b32 exec_lo, exec_lo, s37
	s_delay_alu instid0(SALU_CYCLE_1)
	s_or_not1_b32 s37, s39, exec_lo
	s_or_not1_b32 s38, s38, exec_lo
.LBB8_46:                               ;   in Loop: Header=BB8_51 Depth=3
	s_or_b32 exec_lo, exec_lo, s36
	s_delay_alu instid0(SALU_CYCLE_1)
	s_and_b32 s37, s37, exec_lo
	s_or_not1_b32 s36, s38, exec_lo
.LBB8_47:                               ;   in Loop: Header=BB8_51 Depth=3
	s_or_b32 exec_lo, exec_lo, s35
	s_delay_alu instid0(SALU_CYCLE_1)
	s_or_not1_b32 s35, s37, exec_lo
	s_or_not1_b32 s36, s36, exec_lo
.LBB8_48:                               ;   in Loop: Header=BB8_51 Depth=3
	s_or_b32 exec_lo, exec_lo, s34
	s_delay_alu instid0(SALU_CYCLE_1)
	s_and_b32 s35, s35, exec_lo
	s_or_not1_b32 s34, s36, exec_lo
.LBB8_49:                               ;   in Loop: Header=BB8_51 Depth=3
	s_or_b32 exec_lo, exec_lo, s33
	s_delay_alu instid0(SALU_CYCLE_1)
	s_and_not1_b32 s27, s27, exec_lo
	s_and_b32 s33, s35, exec_lo
	s_and_not1_b32 s26, s26, exec_lo
	s_and_b32 s34, s34, exec_lo
	s_or_b32 s27, s27, s33
	s_or_b32 s26, s26, s34
.LBB8_50:                               ;   in Loop: Header=BB8_51 Depth=3
	s_or_b32 exec_lo, exec_lo, s31
	s_delay_alu instid0(SALU_CYCLE_1)
	s_and_b32 s31, exec_lo, s26
	s_wait_alu 0xfffe
	s_or_b32 s24, s31, s24
	s_and_not1_b32 s25, s25, exec_lo
	s_and_b32 s31, s27, exec_lo
	s_wait_alu 0xfffe
	s_or_b32 s25, s25, s31
	s_and_not1_b32 exec_lo, exec_lo, s24
	s_cbranch_execz .LBB8_60
.LBB8_51:                               ;   Parent Loop BB8_36 Depth=1
                                        ;     Parent Loop BB8_42 Depth=2
                                        ; =>    This Inner Loop Header: Depth=3
	s_delay_alu instid0(VALU_DEP_1) | instskip(SKIP_3) | instid1(VALU_DEP_1)
	v_and_b32_e32 v18, 0x7f, v19
	s_or_b32 s27, s27, exec_lo
	s_or_b32 s26, s26, exec_lo
	s_mov_b32 s31, exec_lo
	v_lshl_add_u32 v20, v18, 2, v14
	ds_load_b32 v20, v20
	s_wait_dscnt 0x0
	v_cmpx_ne_u32_e32 -1, v20
	s_cbranch_execz .LBB8_50
; %bb.52:                               ;   in Loop: Header=BB8_51 Depth=3
	s_mov_b32 s34, -1
	s_mov_b32 s35, 0
	s_mov_b32 s33, exec_lo
	v_cmpx_ne_u32_e64 v20, v12
	s_cbranch_execz .LBB8_49
; %bb.53:                               ;   in Loop: Header=BB8_51 Depth=3
	v_add_nc_u32_e32 v18, 1, v19
	s_mov_b32 s36, -1
	s_mov_b32 s35, -1
	s_mov_b32 s34, exec_lo
	s_delay_alu instid0(VALU_DEP_1) | instskip(NEXT) | instid1(VALU_DEP_1)
	v_and_b32_e32 v18, 0x7f, v18
	v_lshl_add_u32 v20, v18, 2, v14
	ds_load_b32 v20, v20
	s_wait_dscnt 0x0
	v_cmpx_ne_u32_e32 -1, v20
	s_cbranch_execz .LBB8_48
; %bb.54:                               ;   in Loop: Header=BB8_51 Depth=3
	s_mov_b32 s37, 0
	s_mov_b32 s35, exec_lo
	v_cmpx_ne_u32_e64 v20, v12
	s_cbranch_execz .LBB8_47
; %bb.55:                               ;   in Loop: Header=BB8_51 Depth=3
	v_add_nc_u32_e32 v18, 2, v19
	s_mov_b32 s38, -1
	s_mov_b32 s37, -1
	s_mov_b32 s36, exec_lo
	s_delay_alu instid0(VALU_DEP_1) | instskip(NEXT) | instid1(VALU_DEP_1)
	v_and_b32_e32 v18, 0x7f, v18
	v_lshl_add_u32 v20, v18, 2, v14
	ds_load_b32 v20, v20
	s_wait_dscnt 0x0
	v_cmpx_ne_u32_e32 -1, v20
	s_cbranch_execz .LBB8_46
; %bb.56:                               ;   in Loop: Header=BB8_51 Depth=3
	s_mov_b32 s39, 0
	s_mov_b32 s37, exec_lo
	v_cmpx_ne_u32_e64 v20, v12
	s_cbranch_execz .LBB8_45
; %bb.57:                               ;   in Loop: Header=BB8_51 Depth=3
	v_add_nc_u32_e32 v18, 3, v19
	s_mov_b32 s40, -1
	s_mov_b32 s39, -1
	s_mov_b32 s38, exec_lo
	s_delay_alu instid0(VALU_DEP_1) | instskip(NEXT) | instid1(VALU_DEP_1)
	v_and_b32_e32 v18, 0x7f, v18
	v_lshl_add_u32 v19, v18, 2, v14
	ds_load_b32 v20, v19
                                        ; implicit-def: $vgpr19
	s_wait_dscnt 0x0
	v_cmpx_ne_u32_e32 -1, v20
	s_cbranch_execz .LBB8_44
; %bb.58:                               ;   in Loop: Header=BB8_51 Depth=3
	s_mov_b32 s39, 0
	s_mov_b32 s41, exec_lo
                                        ; implicit-def: $vgpr19
	v_cmpx_ne_u32_e64 v20, v12
	s_cbranch_execz .LBB8_43
; %bb.59:                               ;   in Loop: Header=BB8_51 Depth=3
	v_add_nc_u32_e32 v17, -4, v17
	v_add_nc_u32_e32 v19, 1, v18
	s_mov_b32 s39, exec_lo
	s_delay_alu instid0(VALU_DEP_2)
	v_cmp_eq_u32_e32 vcc_lo, 0, v17
	s_or_not1_b32 s40, vcc_lo, exec_lo
	s_branch .LBB8_43
.LBB8_60:                               ;   in Loop: Header=BB8_42 Depth=2
	s_or_b32 exec_lo, exec_lo, s24
	s_wait_alu 0xfffe
	s_xor_b32 s24, s25, -1
	s_wait_alu 0xfffe
	s_and_saveexec_b32 s25, s24
	s_wait_alu 0xfffe
	s_xor_b32 s24, exec_lo, s25
	s_cbranch_execz .LBB8_41
; %bb.61:                               ;   in Loop: Header=BB8_42 Depth=2
	v_lshl_add_u32 v12, v18, 2, v0
	v_add_co_u32 v9, vcc_lo, s8, v9
	s_wait_alu 0xfffd
	v_add_co_ci_u32_e64 v10, null, s9, v10, vcc_lo
	ds_load_b32 v17, v12
	s_wait_dscnt 0x0
	v_ashrrev_i32_e32 v18, 31, v17
	s_delay_alu instid0(VALU_DEP_1) | instskip(NEXT) | instid1(VALU_DEP_1)
	v_lshlrev_b64_e32 v[17:18], 2, v[17:18]
	v_add_co_u32 v17, vcc_lo, s8, v17
	s_wait_alu 0xfffd
	s_delay_alu instid0(VALU_DEP_2)
	v_add_co_ci_u32_e64 v18, null, s9, v18, vcc_lo
	s_clause 0x1
	global_load_b32 v9, v[9:10], off
	global_load_b32 v10, v[17:18], off
	s_wait_loadcnt 0x0
	v_fma_f32 v9, -v11, v9, v10
	global_store_b32 v[17:18], v9, off
	s_branch .LBB8_41
.LBB8_62:
	s_wait_alu 0xfffe
	s_or_b32 exec_lo, exec_lo, s2
	s_mov_b32 s5, -1
	s_mov_b32 s4, exec_lo
	s_wait_loadcnt 0x0
	s_wait_storecnt 0x0
	global_inv scope:SCOPE_SE
	v_cmpx_lt_i32_e32 -1, v6
	s_cbranch_execz .LBB8_78
; %bb.63:
	v_mov_b32_e32 v7, 0
	v_cmp_eq_u32_e64 s2, 0, v13
	s_delay_alu instid0(VALU_DEP_2) | instskip(NEXT) | instid1(VALU_DEP_1)
	v_lshlrev_b64_e32 v[6:7], 2, v[6:7]
	v_add_co_u32 v8, vcc_lo, s8, v6
	s_wait_alu 0xfffd
	s_delay_alu instid0(VALU_DEP_2)
	v_add_co_ci_u32_e64 v9, null, s9, v7, vcc_lo
	global_load_b32 v0, v[8:9], off
	s_wait_loadcnt 0x0
	v_cmp_gt_f32_e32 vcc_lo, 0, v0
	s_wait_alu 0xfffd
	v_cndmask_b32_e64 v6, v0, -v0, vcc_lo
	s_and_not1_b32 vcc_lo, exec_lo, s29
	s_delay_alu instid0(VALU_DEP_1)
	v_cvt_f64_f32_e32 v[6:7], v6
	s_wait_alu 0xfffe
	s_cbranch_vccnz .LBB8_67
; %bb.64:
	v_cvt_f64_f32_e32 v[10:11], s30
	s_cmp_eq_u64 s[20:21], 8
	s_cselect_b32 vcc_lo, -1, 0
	s_wait_alu 0xfffe
	s_delay_alu instid0(VALU_DEP_1) | instskip(NEXT) | instid1(VALU_DEP_1)
	v_dual_cndmask_b32 v4, v11, v4 :: v_dual_cndmask_b32 v3, v10, v3
	v_cmp_ge_f64_e32 vcc_lo, v[3:4], v[6:7]
	s_and_b32 s6, s2, vcc_lo
	s_wait_alu 0xfffe
	s_and_saveexec_b32 s5, s6
	s_cbranch_execz .LBB8_66
; %bb.65:
	v_mov_b32_e32 v3, s3
	global_store_b32 v[8:9], v3, off
	s_wait_storecnt 0x0
	global_inv scope:SCOPE_DEV
.LBB8_66:
	s_wait_alu 0xfffe
	s_or_b32 exec_lo, exec_lo, s5
	s_mov_b32 s5, 0
.LBB8_67:
	s_wait_alu 0xfffe
	s_and_not1_b32 vcc_lo, exec_lo, s5
	s_wait_alu 0xfffe
	s_cbranch_vccnz .LBB8_78
; %bb.68:
	s_load_b64 s[0:1], s[0:1], 0x48
	v_add_nc_u32_e32 v3, s28, v5
	s_wait_kmcnt 0x0
	s_delay_alu instid0(VALU_DEP_2)
	v_cmp_ge_f64_e32 vcc_lo, s[0:1], v[6:7]
	s_and_b32 s1, s2, vcc_lo
	s_wait_alu 0xfffe
	s_and_saveexec_b32 s0, s1
	s_cbranch_execz .LBB8_73
; %bb.69:
	s_mov_b32 s3, exec_lo
	s_brev_b32 s1, -2
.LBB8_70:                               ; =>This Inner Loop Header: Depth=1
	s_wait_alu 0xfffe
	s_ctz_i32_b32 s5, s3
	s_wait_alu 0xfffe
	v_readlane_b32 s6, v3, s5
	s_lshl_b32 s5, 1, s5
	s_wait_alu 0xfffe
	s_and_not1_b32 s3, s3, s5
	s_min_i32 s1, s1, s6
	s_wait_alu 0xfffe
	s_cmp_lg_u32 s3, 0
	s_cbranch_scc1 .LBB8_70
; %bb.71:
	v_mbcnt_lo_u32_b32 v4, exec_lo, 0
	s_mov_b32 s3, exec_lo
	s_delay_alu instid0(VALU_DEP_1)
	v_cmpx_eq_u32_e32 0, v4
	s_wait_alu 0xfffe
	s_xor_b32 s3, exec_lo, s3
	s_cbranch_execz .LBB8_73
; %bb.72:
	v_dual_mov_b32 v4, 0 :: v_dual_mov_b32 v5, s1
	global_atomic_min_i32 v4, v5, s[18:19] scope:SCOPE_DEV
.LBB8_73:
	s_wait_alu 0xfffe
	s_or_b32 exec_lo, exec_lo, s0
	v_cmp_eq_f32_e32 vcc_lo, 0, v0
	s_and_b32 s0, s2, vcc_lo
	s_wait_alu 0xfffe
	s_and_b32 exec_lo, exec_lo, s0
	s_cbranch_execz .LBB8_78
; %bb.74:
	s_mov_b32 s1, exec_lo
	s_brev_b32 s0, -2
.LBB8_75:                               ; =>This Inner Loop Header: Depth=1
	s_wait_alu 0xfffe
	s_ctz_i32_b32 s2, s1
	s_wait_alu 0xfffe
	v_readlane_b32 s3, v3, s2
	s_lshl_b32 s2, 1, s2
	s_wait_alu 0xfffe
	s_and_not1_b32 s1, s1, s2
	s_min_i32 s0, s0, s3
	s_wait_alu 0xfffe
	s_cmp_lg_u32 s1, 0
	s_cbranch_scc1 .LBB8_75
; %bb.76:
	v_mbcnt_lo_u32_b32 v0, exec_lo, 0
	s_mov_b32 s1, exec_lo
	s_delay_alu instid0(VALU_DEP_1)
	v_cmpx_eq_u32_e32 0, v0
	s_wait_alu 0xfffe
	s_xor_b32 s1, exec_lo, s1
	s_cbranch_execz .LBB8_78
; %bb.77:
	v_dual_mov_b32 v0, 0 :: v_dual_mov_b32 v3, s0
	global_atomic_min_i32 v0, v3, s[16:17] scope:SCOPE_DEV
.LBB8_78:
	s_wait_alu 0xfffe
	s_or_b32 exec_lo, exec_lo, s4
	v_cmp_eq_u32_e32 vcc_lo, 0, v13
	s_wait_loadcnt 0x0
	s_wait_storecnt 0x0
	global_inv scope:SCOPE_DEV
	s_and_b32 exec_lo, exec_lo, vcc_lo
	s_cbranch_execz .LBB8_80
; %bb.79:
	v_add_co_u32 v0, vcc_lo, s12, v1
	s_wait_alu 0xfffd
	v_add_co_ci_u32_e64 v1, null, s13, v2, vcc_lo
	v_mov_b32_e32 v2, 1
	s_wait_loadcnt 0x0
	global_store_b32 v[0:1], v2, off scope:SCOPE_DEV
.LBB8_80:
	s_endpgm
	.section	.rodata,"a",@progbits
	.p2align	6, 0x0
	.amdhsa_kernel _ZN9rocsparseL12csrilu0_hashILj256ELj64ELj2EfEEviPKiS2_PT2_S2_PiS2_S5_S5_d21rocsparse_index_base_imNS_24const_host_device_scalarIfEENS7_IdEENS7_IS3_EEb
		.amdhsa_group_segment_fixed_size 4096
		.amdhsa_private_segment_fixed_size 0
		.amdhsa_kernarg_size 124
		.amdhsa_user_sgpr_count 2
		.amdhsa_user_sgpr_dispatch_ptr 0
		.amdhsa_user_sgpr_queue_ptr 0
		.amdhsa_user_sgpr_kernarg_segment_ptr 1
		.amdhsa_user_sgpr_dispatch_id 0
		.amdhsa_user_sgpr_private_segment_size 0
		.amdhsa_wavefront_size32 1
		.amdhsa_uses_dynamic_stack 0
		.amdhsa_enable_private_segment 0
		.amdhsa_system_sgpr_workgroup_id_x 1
		.amdhsa_system_sgpr_workgroup_id_y 0
		.amdhsa_system_sgpr_workgroup_id_z 0
		.amdhsa_system_sgpr_workgroup_info 0
		.amdhsa_system_vgpr_workitem_id 0
		.amdhsa_next_free_vgpr 22
		.amdhsa_next_free_sgpr 42
		.amdhsa_reserve_vcc 1
		.amdhsa_float_round_mode_32 0
		.amdhsa_float_round_mode_16_64 0
		.amdhsa_float_denorm_mode_32 3
		.amdhsa_float_denorm_mode_16_64 3
		.amdhsa_fp16_overflow 0
		.amdhsa_workgroup_processor_mode 1
		.amdhsa_memory_ordered 1
		.amdhsa_forward_progress 1
		.amdhsa_inst_pref_size 26
		.amdhsa_round_robin_scheduling 0
		.amdhsa_exception_fp_ieee_invalid_op 0
		.amdhsa_exception_fp_denorm_src 0
		.amdhsa_exception_fp_ieee_div_zero 0
		.amdhsa_exception_fp_ieee_overflow 0
		.amdhsa_exception_fp_ieee_underflow 0
		.amdhsa_exception_fp_ieee_inexact 0
		.amdhsa_exception_int_div_zero 0
	.end_amdhsa_kernel
	.section	.text._ZN9rocsparseL12csrilu0_hashILj256ELj64ELj2EfEEviPKiS2_PT2_S2_PiS2_S5_S5_d21rocsparse_index_base_imNS_24const_host_device_scalarIfEENS7_IdEENS7_IS3_EEb,"axG",@progbits,_ZN9rocsparseL12csrilu0_hashILj256ELj64ELj2EfEEviPKiS2_PT2_S2_PiS2_S5_S5_d21rocsparse_index_base_imNS_24const_host_device_scalarIfEENS7_IdEENS7_IS3_EEb,comdat
.Lfunc_end8:
	.size	_ZN9rocsparseL12csrilu0_hashILj256ELj64ELj2EfEEviPKiS2_PT2_S2_PiS2_S5_S5_d21rocsparse_index_base_imNS_24const_host_device_scalarIfEENS7_IdEENS7_IS3_EEb, .Lfunc_end8-_ZN9rocsparseL12csrilu0_hashILj256ELj64ELj2EfEEviPKiS2_PT2_S2_PiS2_S5_S5_d21rocsparse_index_base_imNS_24const_host_device_scalarIfEENS7_IdEENS7_IS3_EEb
                                        ; -- End function
	.set _ZN9rocsparseL12csrilu0_hashILj256ELj64ELj2EfEEviPKiS2_PT2_S2_PiS2_S5_S5_d21rocsparse_index_base_imNS_24const_host_device_scalarIfEENS7_IdEENS7_IS3_EEb.num_vgpr, 22
	.set _ZN9rocsparseL12csrilu0_hashILj256ELj64ELj2EfEEviPKiS2_PT2_S2_PiS2_S5_S5_d21rocsparse_index_base_imNS_24const_host_device_scalarIfEENS7_IdEENS7_IS3_EEb.num_agpr, 0
	.set _ZN9rocsparseL12csrilu0_hashILj256ELj64ELj2EfEEviPKiS2_PT2_S2_PiS2_S5_S5_d21rocsparse_index_base_imNS_24const_host_device_scalarIfEENS7_IdEENS7_IS3_EEb.numbered_sgpr, 42
	.set _ZN9rocsparseL12csrilu0_hashILj256ELj64ELj2EfEEviPKiS2_PT2_S2_PiS2_S5_S5_d21rocsparse_index_base_imNS_24const_host_device_scalarIfEENS7_IdEENS7_IS3_EEb.num_named_barrier, 0
	.set _ZN9rocsparseL12csrilu0_hashILj256ELj64ELj2EfEEviPKiS2_PT2_S2_PiS2_S5_S5_d21rocsparse_index_base_imNS_24const_host_device_scalarIfEENS7_IdEENS7_IS3_EEb.private_seg_size, 0
	.set _ZN9rocsparseL12csrilu0_hashILj256ELj64ELj2EfEEviPKiS2_PT2_S2_PiS2_S5_S5_d21rocsparse_index_base_imNS_24const_host_device_scalarIfEENS7_IdEENS7_IS3_EEb.uses_vcc, 1
	.set _ZN9rocsparseL12csrilu0_hashILj256ELj64ELj2EfEEviPKiS2_PT2_S2_PiS2_S5_S5_d21rocsparse_index_base_imNS_24const_host_device_scalarIfEENS7_IdEENS7_IS3_EEb.uses_flat_scratch, 0
	.set _ZN9rocsparseL12csrilu0_hashILj256ELj64ELj2EfEEviPKiS2_PT2_S2_PiS2_S5_S5_d21rocsparse_index_base_imNS_24const_host_device_scalarIfEENS7_IdEENS7_IS3_EEb.has_dyn_sized_stack, 0
	.set _ZN9rocsparseL12csrilu0_hashILj256ELj64ELj2EfEEviPKiS2_PT2_S2_PiS2_S5_S5_d21rocsparse_index_base_imNS_24const_host_device_scalarIfEENS7_IdEENS7_IS3_EEb.has_recursion, 0
	.set _ZN9rocsparseL12csrilu0_hashILj256ELj64ELj2EfEEviPKiS2_PT2_S2_PiS2_S5_S5_d21rocsparse_index_base_imNS_24const_host_device_scalarIfEENS7_IdEENS7_IS3_EEb.has_indirect_call, 0
	.section	.AMDGPU.csdata,"",@progbits
; Kernel info:
; codeLenInByte = 3212
; TotalNumSgprs: 44
; NumVgprs: 22
; ScratchSize: 0
; MemoryBound: 0
; FloatMode: 240
; IeeeMode: 1
; LDSByteSize: 4096 bytes/workgroup (compile time only)
; SGPRBlocks: 0
; VGPRBlocks: 2
; NumSGPRsForWavesPerEU: 44
; NumVGPRsForWavesPerEU: 22
; Occupancy: 16
; WaveLimiterHint : 1
; COMPUTE_PGM_RSRC2:SCRATCH_EN: 0
; COMPUTE_PGM_RSRC2:USER_SGPR: 2
; COMPUTE_PGM_RSRC2:TRAP_HANDLER: 0
; COMPUTE_PGM_RSRC2:TGID_X_EN: 1
; COMPUTE_PGM_RSRC2:TGID_Y_EN: 0
; COMPUTE_PGM_RSRC2:TGID_Z_EN: 0
; COMPUTE_PGM_RSRC2:TIDIG_COMP_CNT: 0
	.section	.text._ZN9rocsparseL12csrilu0_hashILj256ELj64ELj4EfEEviPKiS2_PT2_S2_PiS2_S5_S5_d21rocsparse_index_base_imNS_24const_host_device_scalarIfEENS7_IdEENS7_IS3_EEb,"axG",@progbits,_ZN9rocsparseL12csrilu0_hashILj256ELj64ELj4EfEEviPKiS2_PT2_S2_PiS2_S5_S5_d21rocsparse_index_base_imNS_24const_host_device_scalarIfEENS7_IdEENS7_IS3_EEb,comdat
	.globl	_ZN9rocsparseL12csrilu0_hashILj256ELj64ELj4EfEEviPKiS2_PT2_S2_PiS2_S5_S5_d21rocsparse_index_base_imNS_24const_host_device_scalarIfEENS7_IdEENS7_IS3_EEb ; -- Begin function _ZN9rocsparseL12csrilu0_hashILj256ELj64ELj4EfEEviPKiS2_PT2_S2_PiS2_S5_S5_d21rocsparse_index_base_imNS_24const_host_device_scalarIfEENS7_IdEENS7_IS3_EEb
	.p2align	8
	.type	_ZN9rocsparseL12csrilu0_hashILj256ELj64ELj4EfEEviPKiS2_PT2_S2_PiS2_S5_S5_d21rocsparse_index_base_imNS_24const_host_device_scalarIfEENS7_IdEENS7_IS3_EEb,@function
_ZN9rocsparseL12csrilu0_hashILj256ELj64ELj4EfEEviPKiS2_PT2_S2_PiS2_S5_S5_d21rocsparse_index_base_imNS_24const_host_device_scalarIfEENS7_IdEENS7_IS3_EEb: ; @_ZN9rocsparseL12csrilu0_hashILj256ELj64ELj4EfEEviPKiS2_PT2_S2_PiS2_S5_S5_d21rocsparse_index_base_imNS_24const_host_device_scalarIfEENS7_IdEENS7_IS3_EEb
; %bb.0:
	s_clause 0x2
	s_load_b32 s2, s[0:1], 0x78
	s_load_b64 s[28:29], s[0:1], 0x50
	s_load_b256 s[20:27], s[0:1], 0x58
	s_wait_kmcnt 0x0
	s_bitcmp1_b32 s2, 0
	s_cselect_b32 s2, -1, 0
	s_cmp_eq_u32 s29, 0
	s_cselect_b32 s4, -1, 0
	s_cmp_lg_u32 s29, 0
	s_cselect_b32 s29, -1, 0
	s_or_b32 s6, s4, s2
	s_delay_alu instid0(SALU_CYCLE_1)
	s_xor_b32 s5, s6, -1
	s_and_b32 s2, s4, exec_lo
	s_cselect_b32 s3, 0, s25
	s_cselect_b32 s2, 0, s24
	s_cselect_b32 s30, 0, s22
	s_and_b32 vcc_lo, exec_lo, s6
	s_cbranch_vccnz .LBB9_2
; %bb.1:
	s_load_b32 s30, s[22:23], 0x0
	s_mov_b64 s[2:3], s[24:25]
.LBB9_2:
	v_cndmask_b32_e64 v1, 0, 1, s5
	v_dual_mov_b32 v4, s3 :: v_dual_mov_b32 v3, s2
	s_and_not1_b32 vcc_lo, exec_lo, s5
	s_cbranch_vccnz .LBB9_4
; %bb.3:
	v_dual_mov_b32 v2, s24 :: v_dual_mov_b32 v3, s25
	flat_load_b64 v[3:4], v[2:3]
.LBB9_4:
	s_delay_alu instid0(VALU_DEP_2)
	v_cmp_ne_u32_e32 vcc_lo, 1, v1
	s_and_b32 s2, s4, exec_lo
	s_cselect_b32 s3, 0, s26
	s_mov_b32 s2, 0
	s_cbranch_vccnz .LBB9_6
; %bb.5:
	s_load_b32 s3, s[26:27], 0x0
.LBB9_6:
	v_lshrrev_b32_e32 v1, 6, v0
	v_and_b32_e32 v13, 63, v0
	s_delay_alu instid0(VALU_DEP_2) | instskip(NEXT) | instid1(VALU_DEP_2)
	v_lshlrev_b32_e32 v5, 10, v1
	v_lshlrev_b32_e32 v6, 2, v13
	s_delay_alu instid0(VALU_DEP_1)
	v_or3_b32 v5, v5, v6, 0x1000
	v_mov_b32_e32 v6, -1
	v_or_b32_e32 v2, 0xffffffc0, v13
.LBB9_7:                                ; =>This Inner Loop Header: Depth=1
	s_delay_alu instid0(VALU_DEP_1)
	v_add_nc_u32_e32 v2, 64, v2
	ds_store_b32 v5, v6
	v_add_nc_u32_e32 v5, 0x100, v5
	v_cmp_lt_u32_e32 vcc_lo, 0xbf, v2
	s_wait_alu 0xfffe
	s_or_b32 s2, vcc_lo, s2
	s_wait_alu 0xfffe
	s_and_not1_b32 exec_lo, exec_lo, s2
	s_cbranch_execnz .LBB9_7
; %bb.8:
	s_or_b32 exec_lo, exec_lo, s2
	s_load_b32 s2, s[0:1], 0x0
	s_lshl_b32 s4, ttmp9, 2
	s_wait_loadcnt_dscnt 0x0
	global_inv scope:SCOPE_SE
	s_wait_alu 0xfffe
	v_and_or_b32 v1, 0x3fffffc, s4, v1
	s_wait_kmcnt 0x0
	s_delay_alu instid0(VALU_DEP_1)
	v_cmp_gt_i32_e32 vcc_lo, s2, v1
	s_and_saveexec_b32 s2, vcc_lo
	s_cbranch_execz .LBB9_80
; %bb.9:
	s_load_b512 s[4:19], s[0:1], 0x8
	v_lshlrev_b32_e32 v1, 2, v1
	v_lshlrev_b32_e32 v0, 4, v0
	s_mov_b32 s2, exec_lo
	s_delay_alu instid0(VALU_DEP_1) | instskip(NEXT) | instid1(VALU_DEP_1)
	v_and_b32_e32 v0, 0xc00, v0
	v_or_b32_e32 v14, 0x1000, v0
	s_wait_kmcnt 0x0
	global_load_b32 v5, v1, s[14:15]
	s_wait_loadcnt 0x0
	v_ashrrev_i32_e32 v6, 31, v5
	s_delay_alu instid0(VALU_DEP_1) | instskip(NEXT) | instid1(VALU_DEP_1)
	v_lshlrev_b64_e32 v[1:2], 2, v[5:6]
	v_add_co_u32 v6, vcc_lo, s4, v1
	s_delay_alu instid0(VALU_DEP_1)
	v_add_co_ci_u32_e64 v7, null, s5, v2, vcc_lo
	v_add_co_u32 v9, vcc_lo, s10, v1
	s_wait_alu 0xfffd
	v_add_co_ci_u32_e64 v10, null, s11, v2, vcc_lo
	global_load_b64 v[7:8], v[6:7], off
	global_load_b32 v6, v[9:10], off
	s_wait_loadcnt 0x1
	v_subrev_nc_u32_e32 v7, s28, v7
	v_subrev_nc_u32_e32 v10, s28, v8
	s_delay_alu instid0(VALU_DEP_2) | instskip(NEXT) | instid1(VALU_DEP_1)
	v_add_nc_u32_e32 v8, v7, v13
	v_cmpx_lt_i32_e64 v8, v10
	s_cbranch_execz .LBB9_32
; %bb.10:
	v_mov_b32_e32 v11, -1
	s_mov_b32 s14, 0
	s_branch .LBB9_12
.LBB9_11:                               ;   in Loop: Header=BB9_12 Depth=1
	s_or_b32 exec_lo, exec_lo, s15
	v_add_nc_u32_e32 v8, 64, v8
	s_delay_alu instid0(VALU_DEP_1) | instskip(SKIP_1) | instid1(SALU_CYCLE_1)
	v_cmp_ge_i32_e32 vcc_lo, v8, v10
	s_or_b32 s14, vcc_lo, s14
	s_and_not1_b32 exec_lo, exec_lo, s14
	s_cbranch_execz .LBB9_32
.LBB9_12:                               ; =>This Loop Header: Depth=1
                                        ;     Child Loop BB9_21 Depth 2
	v_ashrrev_i32_e32 v9, 31, v8
	v_mov_b32_e32 v12, 0x100
	s_mov_b32 s15, 0
                                        ; implicit-def: $sgpr22
                                        ; implicit-def: $sgpr23
                                        ; implicit-def: $sgpr24
	s_delay_alu instid0(VALU_DEP_2) | instskip(NEXT) | instid1(VALU_DEP_1)
	v_lshlrev_b64_e32 v[15:16], 2, v[8:9]
	v_add_co_u32 v15, vcc_lo, s6, v15
	s_wait_alu 0xfffd
	s_delay_alu instid0(VALU_DEP_2)
	v_add_co_ci_u32_e64 v16, null, s7, v16, vcc_lo
	global_load_b32 v9, v[15:16], off
	s_wait_loadcnt 0x0
	v_mul_lo_u32 v16, 0x67, v9
	s_branch .LBB9_21
.LBB9_13:                               ;   in Loop: Header=BB9_21 Depth=2
	s_or_b32 exec_lo, exec_lo, s38
	s_delay_alu instid0(SALU_CYCLE_1)
	s_or_not1_b32 s36, s36, exec_lo
	s_or_not1_b32 s37, s37, exec_lo
.LBB9_14:                               ;   in Loop: Header=BB9_21 Depth=2
	s_or_b32 exec_lo, exec_lo, s35
	s_delay_alu instid0(SALU_CYCLE_1)
	s_and_b32 s36, s36, exec_lo
	s_or_not1_b32 s35, s37, exec_lo
.LBB9_15:                               ;   in Loop: Header=BB9_21 Depth=2
	s_or_b32 exec_lo, exec_lo, s34
	s_delay_alu instid0(SALU_CYCLE_1)
	s_or_not1_b32 s34, s36, exec_lo
	s_or_not1_b32 s35, s35, exec_lo
.LBB9_16:                               ;   in Loop: Header=BB9_21 Depth=2
	s_or_b32 exec_lo, exec_lo, s33
	s_delay_alu instid0(SALU_CYCLE_1)
	s_and_b32 s34, s34, exec_lo
	s_or_not1_b32 s33, s35, exec_lo
.LBB9_17:                               ;   in Loop: Header=BB9_21 Depth=2
	s_or_b32 exec_lo, exec_lo, s31
	s_delay_alu instid0(SALU_CYCLE_1)
	s_or_not1_b32 s31, s34, exec_lo
	s_or_not1_b32 s33, s33, exec_lo
.LBB9_18:                               ;   in Loop: Header=BB9_21 Depth=2
	s_or_b32 exec_lo, exec_lo, s27
	s_delay_alu instid0(SALU_CYCLE_1)
	s_and_b32 s31, s31, exec_lo
	s_or_not1_b32 s27, s33, exec_lo
.LBB9_19:                               ;   in Loop: Header=BB9_21 Depth=2
	s_or_b32 exec_lo, exec_lo, s26
	s_wait_alu 0xfffe
	s_and_not1_b32 s24, s24, exec_lo
	s_and_b32 s26, s31, exec_lo
	s_and_not1_b32 s23, s23, exec_lo
	s_and_b32 s27, s27, exec_lo
	s_wait_alu 0xfffe
	s_or_b32 s24, s24, s26
	s_or_b32 s23, s23, s27
.LBB9_20:                               ;   in Loop: Header=BB9_21 Depth=2
	s_wait_alu 0xfffe
	s_or_b32 exec_lo, exec_lo, s25
	s_delay_alu instid0(SALU_CYCLE_1)
	s_and_b32 s25, exec_lo, s23
	s_wait_alu 0xfffe
	s_or_b32 s15, s25, s15
	s_and_not1_b32 s22, s22, exec_lo
	s_and_b32 s25, s24, exec_lo
	s_wait_alu 0xfffe
	s_or_b32 s22, s22, s25
	s_and_not1_b32 exec_lo, exec_lo, s15
	s_cbranch_execz .LBB9_30
.LBB9_21:                               ;   Parent Loop BB9_12 Depth=1
                                        ; =>  This Inner Loop Header: Depth=2
	s_delay_alu instid0(VALU_DEP_1) | instskip(SKIP_3) | instid1(VALU_DEP_1)
	v_and_b32_e32 v15, 0xff, v16
	s_or_b32 s24, s24, exec_lo
	s_or_b32 s23, s23, exec_lo
	s_mov_b32 s25, exec_lo
	v_lshl_add_u32 v17, v15, 2, v14
	ds_load_b32 v18, v17
	s_wait_dscnt 0x0
	v_cmpx_ne_u32_e64 v18, v9
	s_cbranch_execz .LBB9_20
; %bb.22:                               ;   in Loop: Header=BB9_21 Depth=2
	ds_cmpstore_rtn_b32 v17, v17, v9, v11
	s_mov_b32 s27, -1
	s_mov_b32 s31, 0
	s_mov_b32 s26, exec_lo
	s_wait_dscnt 0x0
	v_cmpx_ne_u32_e32 -1, v17
	s_cbranch_execz .LBB9_19
; %bb.23:                               ;   in Loop: Header=BB9_21 Depth=2
	v_add_nc_u32_e32 v15, 1, v16
	s_mov_b32 s33, -1
	s_mov_b32 s31, -1
	s_mov_b32 s27, exec_lo
	s_delay_alu instid0(VALU_DEP_1) | instskip(NEXT) | instid1(VALU_DEP_1)
	v_and_b32_e32 v15, 0xff, v15
	v_lshl_add_u32 v17, v15, 2, v14
	ds_load_b32 v18, v17
	s_wait_dscnt 0x0
	v_cmpx_ne_u32_e64 v18, v9
	s_cbranch_execz .LBB9_18
; %bb.24:                               ;   in Loop: Header=BB9_21 Depth=2
	ds_cmpstore_rtn_b32 v17, v17, v9, v11
	s_mov_b32 s34, 0
	s_mov_b32 s31, exec_lo
	s_wait_dscnt 0x0
	v_cmpx_ne_u32_e32 -1, v17
	s_cbranch_execz .LBB9_17
; %bb.25:                               ;   in Loop: Header=BB9_21 Depth=2
	v_add_nc_u32_e32 v15, 2, v16
	s_mov_b32 s35, -1
	s_mov_b32 s34, -1
	s_mov_b32 s33, exec_lo
	s_delay_alu instid0(VALU_DEP_1) | instskip(NEXT) | instid1(VALU_DEP_1)
	v_and_b32_e32 v15, 0xff, v15
	v_lshl_add_u32 v17, v15, 2, v14
	ds_load_b32 v18, v17
	s_wait_dscnt 0x0
	v_cmpx_ne_u32_e64 v18, v9
	s_cbranch_execz .LBB9_16
; %bb.26:                               ;   in Loop: Header=BB9_21 Depth=2
	ds_cmpstore_rtn_b32 v17, v17, v9, v11
	s_mov_b32 s36, 0
	s_mov_b32 s34, exec_lo
	s_wait_dscnt 0x0
	v_cmpx_ne_u32_e32 -1, v17
	s_cbranch_execz .LBB9_15
; %bb.27:                               ;   in Loop: Header=BB9_21 Depth=2
	v_add_nc_u32_e32 v15, 3, v16
	s_mov_b32 s37, -1
	s_mov_b32 s36, -1
	s_delay_alu instid0(VALU_DEP_1) | instskip(NEXT) | instid1(VALU_DEP_1)
	v_and_b32_e32 v15, 0xff, v15
	v_lshl_add_u32 v17, v15, 2, v14
	ds_load_b32 v16, v17
	s_wait_dscnt 0x0
	v_cmp_ne_u32_e32 vcc_lo, v16, v9
                                        ; implicit-def: $vgpr16
	s_and_saveexec_b32 s35, vcc_lo
	s_cbranch_execz .LBB9_14
; %bb.28:                               ;   in Loop: Header=BB9_21 Depth=2
	ds_cmpstore_rtn_b32 v16, v17, v9, v11
	s_mov_b32 s36, 0
	s_wait_dscnt 0x0
	v_cmp_ne_u32_e32 vcc_lo, -1, v16
                                        ; implicit-def: $vgpr16
	s_and_saveexec_b32 s38, vcc_lo
	s_cbranch_execz .LBB9_13
; %bb.29:                               ;   in Loop: Header=BB9_21 Depth=2
	v_add_nc_u32_e32 v12, -4, v12
	v_add_nc_u32_e32 v16, 1, v15
	s_mov_b32 s36, exec_lo
	s_delay_alu instid0(VALU_DEP_2)
	v_cmp_eq_u32_e32 vcc_lo, 0, v12
	s_or_not1_b32 s37, vcc_lo, exec_lo
	s_branch .LBB9_13
.LBB9_30:                               ;   in Loop: Header=BB9_12 Depth=1
	s_or_b32 exec_lo, exec_lo, s15
	s_xor_b32 s15, s22, -1
	s_delay_alu instid0(SALU_CYCLE_1) | instskip(NEXT) | instid1(SALU_CYCLE_1)
	s_and_saveexec_b32 s22, s15
	s_xor_b32 s15, exec_lo, s22
	s_cbranch_execz .LBB9_11
; %bb.31:                               ;   in Loop: Header=BB9_12 Depth=1
	v_lshl_add_u32 v9, v15, 2, v0
	ds_store_b32 v9, v8
	s_branch .LBB9_11
.LBB9_32:
	s_wait_alu 0xfffe
	s_or_b32 exec_lo, exec_lo, s2
	s_delay_alu instid0(SALU_CYCLE_1)
	s_mov_b32 s2, exec_lo
	s_wait_loadcnt_dscnt 0x0
	global_inv scope:SCOPE_SE
	v_cmpx_lt_i32_e64 v7, v6
	s_cbranch_execz .LBB9_62
; %bb.33:
	v_add_nc_u32_e32 v15, 1, v13
	s_mov_b32 s14, 0
	s_branch .LBB9_36
.LBB9_34:                               ;   in Loop: Header=BB9_36 Depth=1
	s_or_b32 exec_lo, exec_lo, s22
	v_add_nc_u32_e32 v7, 1, v7
	s_delay_alu instid0(VALU_DEP_1)
	v_cmp_ge_i32_e32 vcc_lo, v7, v6
	s_or_not1_b32 s22, vcc_lo, exec_lo
.LBB9_35:                               ;   in Loop: Header=BB9_36 Depth=1
	s_or_b32 exec_lo, exec_lo, s15
	s_delay_alu instid0(SALU_CYCLE_1) | instskip(NEXT) | instid1(SALU_CYCLE_1)
	s_and_b32 s15, exec_lo, s22
	s_or_b32 s14, s15, s14
	s_delay_alu instid0(SALU_CYCLE_1)
	s_and_not1_b32 exec_lo, exec_lo, s14
	s_cbranch_execz .LBB9_62
.LBB9_36:                               ; =>This Loop Header: Depth=1
                                        ;     Child Loop BB9_37 Depth 2
                                        ;     Child Loop BB9_42 Depth 2
                                        ;       Child Loop BB9_51 Depth 3
	v_ashrrev_i32_e32 v8, 31, v7
	s_mov_b32 s15, 0
	s_delay_alu instid0(VALU_DEP_1) | instskip(NEXT) | instid1(VALU_DEP_1)
	v_lshlrev_b64_e32 v[9:10], 2, v[7:8]
	v_add_co_u32 v11, vcc_lo, s6, v9
	s_wait_alu 0xfffd
	s_delay_alu instid0(VALU_DEP_2)
	v_add_co_ci_u32_e64 v12, null, s7, v10, vcc_lo
	v_add_co_u32 v9, vcc_lo, s8, v9
	s_wait_alu 0xfffd
	v_add_co_ci_u32_e64 v10, null, s9, v10, vcc_lo
	global_load_b32 v8, v[11:12], off
	s_wait_loadcnt 0x0
	v_subrev_nc_u32_e32 v11, s28, v8
	s_delay_alu instid0(VALU_DEP_1) | instskip(NEXT) | instid1(VALU_DEP_1)
	v_ashrrev_i32_e32 v12, 31, v11
	v_lshlrev_b64_e32 v[11:12], 2, v[11:12]
	s_delay_alu instid0(VALU_DEP_1) | instskip(SKIP_1) | instid1(VALU_DEP_2)
	v_add_co_u32 v18, vcc_lo, s4, v11
	s_wait_alu 0xfffd
	v_add_co_ci_u32_e64 v19, null, s5, v12, vcc_lo
	v_add_co_u32 v20, vcc_lo, s10, v11
	s_wait_alu 0xfffd
	v_add_co_ci_u32_e64 v21, null, s11, v12, vcc_lo
	global_load_b32 v17, v[9:10], off
	global_load_b32 v8, v[18:19], off offset:4
	global_load_b32 v18, v[20:21], off
	v_add_co_u32 v11, vcc_lo, s12, v11
	s_wait_alu 0xfffd
	v_add_co_ci_u32_e64 v12, null, s13, v12, vcc_lo
.LBB9_37:                               ;   Parent Loop BB9_36 Depth=1
                                        ; =>  This Inner Loop Header: Depth=2
	global_load_b32 v16, v[11:12], off scope:SCOPE_DEV
	s_wait_loadcnt 0x0
	v_cmp_ne_u32_e32 vcc_lo, 0, v16
	s_or_b32 s15, vcc_lo, s15
	s_delay_alu instid0(SALU_CYCLE_1)
	s_and_not1_b32 exec_lo, exec_lo, s15
	s_cbranch_execnz .LBB9_37
; %bb.38:                               ;   in Loop: Header=BB9_36 Depth=1
	s_or_b32 exec_lo, exec_lo, s15
	v_subrev_nc_u32_e32 v16, s28, v8
	v_cmp_eq_u32_e32 vcc_lo, -1, v18
	global_inv scope:SCOPE_DEV
	s_mov_b32 s22, -1
	s_mov_b32 s15, exec_lo
	v_add_nc_u32_e32 v8, -1, v16
	s_wait_alu 0xfffd
	s_delay_alu instid0(VALU_DEP_1) | instskip(NEXT) | instid1(VALU_DEP_1)
	v_cndmask_b32_e32 v11, v18, v8, vcc_lo
	v_ashrrev_i32_e32 v12, 31, v11
	s_delay_alu instid0(VALU_DEP_1) | instskip(NEXT) | instid1(VALU_DEP_1)
	v_lshlrev_b64_e32 v[18:19], 2, v[11:12]
	v_add_co_u32 v18, vcc_lo, s8, v18
	s_wait_alu 0xfffd
	s_delay_alu instid0(VALU_DEP_2)
	v_add_co_ci_u32_e64 v19, null, s9, v19, vcc_lo
	global_load_b32 v12, v[18:19], off
	s_wait_loadcnt 0x0
	v_cmpx_neq_f32_e32 0, v12
	s_cbranch_execz .LBB9_35
; %bb.39:                               ;   in Loop: Header=BB9_36 Depth=1
	v_div_scale_f32 v8, null, v12, v12, v17
	s_mov_b32 s22, exec_lo
	v_rcp_f32_e32 v18, v8
	s_delay_alu instid0(TRANS32_DEP_1) | instskip(NEXT) | instid1(VALU_DEP_1)
	v_fma_f32 v19, -v8, v18, 1.0
	v_fmac_f32_e32 v18, v19, v18
	v_div_scale_f32 v19, vcc_lo, v17, v12, v17
	s_delay_alu instid0(VALU_DEP_1) | instskip(NEXT) | instid1(VALU_DEP_1)
	v_mul_f32_e32 v20, v19, v18
	v_fma_f32 v21, -v8, v20, v19
	s_delay_alu instid0(VALU_DEP_1) | instskip(NEXT) | instid1(VALU_DEP_1)
	v_fmac_f32_e32 v20, v21, v18
	v_fma_f32 v8, -v8, v20, v19
	s_wait_alu 0xfffd
	s_delay_alu instid0(VALU_DEP_1) | instskip(SKIP_1) | instid1(VALU_DEP_2)
	v_div_fmas_f32 v18, v8, v18, v20
	v_add_nc_u32_e32 v8, v15, v11
	v_div_fixup_f32 v11, v18, v12, v17
	global_store_b32 v[9:10], v11, off
	v_cmpx_lt_i32_e64 v8, v16
	s_cbranch_execz .LBB9_34
; %bb.40:                               ;   in Loop: Header=BB9_36 Depth=1
	s_mov_b32 s23, 0
	s_branch .LBB9_42
.LBB9_41:                               ;   in Loop: Header=BB9_42 Depth=2
	s_wait_alu 0xfffe
	s_or_b32 exec_lo, exec_lo, s24
	v_add_nc_u32_e32 v8, 64, v8
	s_delay_alu instid0(VALU_DEP_1) | instskip(SKIP_1) | instid1(SALU_CYCLE_1)
	v_cmp_ge_i32_e32 vcc_lo, v8, v16
	s_or_b32 s23, vcc_lo, s23
	s_and_not1_b32 exec_lo, exec_lo, s23
	s_cbranch_execz .LBB9_34
.LBB9_42:                               ;   Parent Loop BB9_36 Depth=1
                                        ; =>  This Loop Header: Depth=2
                                        ;       Child Loop BB9_51 Depth 3
	v_ashrrev_i32_e32 v9, 31, v8
	s_mov_b32 s24, 0
                                        ; implicit-def: $sgpr25
                                        ; implicit-def: $sgpr26
                                        ; implicit-def: $sgpr27
	s_delay_alu instid0(VALU_DEP_1) | instskip(NEXT) | instid1(VALU_DEP_1)
	v_lshlrev_b64_e32 v[9:10], 2, v[8:9]
	v_add_co_u32 v17, vcc_lo, s6, v9
	s_wait_alu 0xfffd
	s_delay_alu instid0(VALU_DEP_2)
	v_add_co_ci_u32_e64 v18, null, s7, v10, vcc_lo
	global_load_b32 v12, v[17:18], off
	v_mov_b32_e32 v17, 0x100
	s_wait_loadcnt 0x0
	v_mul_lo_u32 v19, 0x67, v12
	s_branch .LBB9_51
.LBB9_43:                               ;   in Loop: Header=BB9_51 Depth=3
	s_or_b32 exec_lo, exec_lo, s41
	s_delay_alu instid0(SALU_CYCLE_1)
	s_or_not1_b32 s39, s39, exec_lo
	s_or_not1_b32 s40, s40, exec_lo
.LBB9_44:                               ;   in Loop: Header=BB9_51 Depth=3
	s_or_b32 exec_lo, exec_lo, s38
	s_delay_alu instid0(SALU_CYCLE_1)
	s_and_b32 s39, s39, exec_lo
	s_or_not1_b32 s38, s40, exec_lo
.LBB9_45:                               ;   in Loop: Header=BB9_51 Depth=3
	s_or_b32 exec_lo, exec_lo, s37
	s_delay_alu instid0(SALU_CYCLE_1)
	s_or_not1_b32 s37, s39, exec_lo
	s_or_not1_b32 s38, s38, exec_lo
.LBB9_46:                               ;   in Loop: Header=BB9_51 Depth=3
	s_or_b32 exec_lo, exec_lo, s36
	s_delay_alu instid0(SALU_CYCLE_1)
	s_and_b32 s37, s37, exec_lo
	s_or_not1_b32 s36, s38, exec_lo
.LBB9_47:                               ;   in Loop: Header=BB9_51 Depth=3
	s_or_b32 exec_lo, exec_lo, s35
	s_delay_alu instid0(SALU_CYCLE_1)
	s_or_not1_b32 s35, s37, exec_lo
	s_or_not1_b32 s36, s36, exec_lo
.LBB9_48:                               ;   in Loop: Header=BB9_51 Depth=3
	s_or_b32 exec_lo, exec_lo, s34
	s_delay_alu instid0(SALU_CYCLE_1)
	s_and_b32 s35, s35, exec_lo
	s_or_not1_b32 s34, s36, exec_lo
.LBB9_49:                               ;   in Loop: Header=BB9_51 Depth=3
	s_or_b32 exec_lo, exec_lo, s33
	s_delay_alu instid0(SALU_CYCLE_1)
	s_and_not1_b32 s27, s27, exec_lo
	s_and_b32 s33, s35, exec_lo
	s_and_not1_b32 s26, s26, exec_lo
	s_and_b32 s34, s34, exec_lo
	s_or_b32 s27, s27, s33
	s_or_b32 s26, s26, s34
.LBB9_50:                               ;   in Loop: Header=BB9_51 Depth=3
	s_or_b32 exec_lo, exec_lo, s31
	s_delay_alu instid0(SALU_CYCLE_1)
	s_and_b32 s31, exec_lo, s26
	s_wait_alu 0xfffe
	s_or_b32 s24, s31, s24
	s_and_not1_b32 s25, s25, exec_lo
	s_and_b32 s31, s27, exec_lo
	s_wait_alu 0xfffe
	s_or_b32 s25, s25, s31
	s_and_not1_b32 exec_lo, exec_lo, s24
	s_cbranch_execz .LBB9_60
.LBB9_51:                               ;   Parent Loop BB9_36 Depth=1
                                        ;     Parent Loop BB9_42 Depth=2
                                        ; =>    This Inner Loop Header: Depth=3
	s_delay_alu instid0(VALU_DEP_1) | instskip(SKIP_3) | instid1(VALU_DEP_1)
	v_and_b32_e32 v18, 0xff, v19
	s_or_b32 s27, s27, exec_lo
	s_or_b32 s26, s26, exec_lo
	s_mov_b32 s31, exec_lo
	v_lshl_add_u32 v20, v18, 2, v14
	ds_load_b32 v20, v20
	s_wait_dscnt 0x0
	v_cmpx_ne_u32_e32 -1, v20
	s_cbranch_execz .LBB9_50
; %bb.52:                               ;   in Loop: Header=BB9_51 Depth=3
	s_mov_b32 s34, -1
	s_mov_b32 s35, 0
	s_mov_b32 s33, exec_lo
	v_cmpx_ne_u32_e64 v20, v12
	s_cbranch_execz .LBB9_49
; %bb.53:                               ;   in Loop: Header=BB9_51 Depth=3
	v_add_nc_u32_e32 v18, 1, v19
	s_mov_b32 s36, -1
	s_mov_b32 s35, -1
	s_mov_b32 s34, exec_lo
	s_delay_alu instid0(VALU_DEP_1) | instskip(NEXT) | instid1(VALU_DEP_1)
	v_and_b32_e32 v18, 0xff, v18
	v_lshl_add_u32 v20, v18, 2, v14
	ds_load_b32 v20, v20
	s_wait_dscnt 0x0
	v_cmpx_ne_u32_e32 -1, v20
	s_cbranch_execz .LBB9_48
; %bb.54:                               ;   in Loop: Header=BB9_51 Depth=3
	s_mov_b32 s37, 0
	s_mov_b32 s35, exec_lo
	v_cmpx_ne_u32_e64 v20, v12
	s_cbranch_execz .LBB9_47
; %bb.55:                               ;   in Loop: Header=BB9_51 Depth=3
	v_add_nc_u32_e32 v18, 2, v19
	s_mov_b32 s38, -1
	s_mov_b32 s37, -1
	s_mov_b32 s36, exec_lo
	s_delay_alu instid0(VALU_DEP_1) | instskip(NEXT) | instid1(VALU_DEP_1)
	v_and_b32_e32 v18, 0xff, v18
	v_lshl_add_u32 v20, v18, 2, v14
	ds_load_b32 v20, v20
	s_wait_dscnt 0x0
	v_cmpx_ne_u32_e32 -1, v20
	s_cbranch_execz .LBB9_46
; %bb.56:                               ;   in Loop: Header=BB9_51 Depth=3
	s_mov_b32 s39, 0
	s_mov_b32 s37, exec_lo
	v_cmpx_ne_u32_e64 v20, v12
	s_cbranch_execz .LBB9_45
; %bb.57:                               ;   in Loop: Header=BB9_51 Depth=3
	v_add_nc_u32_e32 v18, 3, v19
	s_mov_b32 s40, -1
	s_mov_b32 s39, -1
	s_mov_b32 s38, exec_lo
	s_delay_alu instid0(VALU_DEP_1) | instskip(NEXT) | instid1(VALU_DEP_1)
	v_and_b32_e32 v18, 0xff, v18
	v_lshl_add_u32 v19, v18, 2, v14
	ds_load_b32 v20, v19
                                        ; implicit-def: $vgpr19
	s_wait_dscnt 0x0
	v_cmpx_ne_u32_e32 -1, v20
	s_cbranch_execz .LBB9_44
; %bb.58:                               ;   in Loop: Header=BB9_51 Depth=3
	s_mov_b32 s39, 0
	s_mov_b32 s41, exec_lo
                                        ; implicit-def: $vgpr19
	v_cmpx_ne_u32_e64 v20, v12
	s_cbranch_execz .LBB9_43
; %bb.59:                               ;   in Loop: Header=BB9_51 Depth=3
	v_add_nc_u32_e32 v17, -4, v17
	v_add_nc_u32_e32 v19, 1, v18
	s_mov_b32 s39, exec_lo
	s_delay_alu instid0(VALU_DEP_2)
	v_cmp_eq_u32_e32 vcc_lo, 0, v17
	s_or_not1_b32 s40, vcc_lo, exec_lo
	s_branch .LBB9_43
.LBB9_60:                               ;   in Loop: Header=BB9_42 Depth=2
	s_or_b32 exec_lo, exec_lo, s24
	s_wait_alu 0xfffe
	s_xor_b32 s24, s25, -1
	s_wait_alu 0xfffe
	s_and_saveexec_b32 s25, s24
	s_wait_alu 0xfffe
	s_xor_b32 s24, exec_lo, s25
	s_cbranch_execz .LBB9_41
; %bb.61:                               ;   in Loop: Header=BB9_42 Depth=2
	v_lshl_add_u32 v12, v18, 2, v0
	v_add_co_u32 v9, vcc_lo, s8, v9
	s_wait_alu 0xfffd
	v_add_co_ci_u32_e64 v10, null, s9, v10, vcc_lo
	ds_load_b32 v17, v12
	s_wait_dscnt 0x0
	v_ashrrev_i32_e32 v18, 31, v17
	s_delay_alu instid0(VALU_DEP_1) | instskip(NEXT) | instid1(VALU_DEP_1)
	v_lshlrev_b64_e32 v[17:18], 2, v[17:18]
	v_add_co_u32 v17, vcc_lo, s8, v17
	s_wait_alu 0xfffd
	s_delay_alu instid0(VALU_DEP_2)
	v_add_co_ci_u32_e64 v18, null, s9, v18, vcc_lo
	s_clause 0x1
	global_load_b32 v9, v[9:10], off
	global_load_b32 v10, v[17:18], off
	s_wait_loadcnt 0x0
	v_fma_f32 v9, -v11, v9, v10
	global_store_b32 v[17:18], v9, off
	s_branch .LBB9_41
.LBB9_62:
	s_wait_alu 0xfffe
	s_or_b32 exec_lo, exec_lo, s2
	s_mov_b32 s5, -1
	s_mov_b32 s4, exec_lo
	s_wait_loadcnt 0x0
	s_wait_storecnt 0x0
	global_inv scope:SCOPE_SE
	v_cmpx_lt_i32_e32 -1, v6
	s_cbranch_execz .LBB9_78
; %bb.63:
	v_mov_b32_e32 v7, 0
	v_cmp_eq_u32_e64 s2, 0, v13
	s_delay_alu instid0(VALU_DEP_2) | instskip(NEXT) | instid1(VALU_DEP_1)
	v_lshlrev_b64_e32 v[6:7], 2, v[6:7]
	v_add_co_u32 v8, vcc_lo, s8, v6
	s_wait_alu 0xfffd
	s_delay_alu instid0(VALU_DEP_2)
	v_add_co_ci_u32_e64 v9, null, s9, v7, vcc_lo
	global_load_b32 v0, v[8:9], off
	s_wait_loadcnt 0x0
	v_cmp_gt_f32_e32 vcc_lo, 0, v0
	s_wait_alu 0xfffd
	v_cndmask_b32_e64 v6, v0, -v0, vcc_lo
	s_and_not1_b32 vcc_lo, exec_lo, s29
	s_delay_alu instid0(VALU_DEP_1)
	v_cvt_f64_f32_e32 v[6:7], v6
	s_wait_alu 0xfffe
	s_cbranch_vccnz .LBB9_67
; %bb.64:
	v_cvt_f64_f32_e32 v[10:11], s30
	s_cmp_eq_u64 s[20:21], 8
	s_cselect_b32 vcc_lo, -1, 0
	s_wait_alu 0xfffe
	s_delay_alu instid0(VALU_DEP_1) | instskip(NEXT) | instid1(VALU_DEP_1)
	v_dual_cndmask_b32 v4, v11, v4 :: v_dual_cndmask_b32 v3, v10, v3
	v_cmp_ge_f64_e32 vcc_lo, v[3:4], v[6:7]
	s_and_b32 s6, s2, vcc_lo
	s_wait_alu 0xfffe
	s_and_saveexec_b32 s5, s6
	s_cbranch_execz .LBB9_66
; %bb.65:
	v_mov_b32_e32 v3, s3
	global_store_b32 v[8:9], v3, off
	s_wait_storecnt 0x0
	global_inv scope:SCOPE_DEV
.LBB9_66:
	s_wait_alu 0xfffe
	s_or_b32 exec_lo, exec_lo, s5
	s_mov_b32 s5, 0
.LBB9_67:
	s_wait_alu 0xfffe
	s_and_not1_b32 vcc_lo, exec_lo, s5
	s_wait_alu 0xfffe
	s_cbranch_vccnz .LBB9_78
; %bb.68:
	s_load_b64 s[0:1], s[0:1], 0x48
	v_add_nc_u32_e32 v3, s28, v5
	s_wait_kmcnt 0x0
	s_delay_alu instid0(VALU_DEP_2)
	v_cmp_ge_f64_e32 vcc_lo, s[0:1], v[6:7]
	s_and_b32 s1, s2, vcc_lo
	s_wait_alu 0xfffe
	s_and_saveexec_b32 s0, s1
	s_cbranch_execz .LBB9_73
; %bb.69:
	s_mov_b32 s3, exec_lo
	s_brev_b32 s1, -2
.LBB9_70:                               ; =>This Inner Loop Header: Depth=1
	s_wait_alu 0xfffe
	s_ctz_i32_b32 s5, s3
	s_wait_alu 0xfffe
	v_readlane_b32 s6, v3, s5
	s_lshl_b32 s5, 1, s5
	s_wait_alu 0xfffe
	s_and_not1_b32 s3, s3, s5
	s_min_i32 s1, s1, s6
	s_wait_alu 0xfffe
	s_cmp_lg_u32 s3, 0
	s_cbranch_scc1 .LBB9_70
; %bb.71:
	v_mbcnt_lo_u32_b32 v4, exec_lo, 0
	s_mov_b32 s3, exec_lo
	s_delay_alu instid0(VALU_DEP_1)
	v_cmpx_eq_u32_e32 0, v4
	s_wait_alu 0xfffe
	s_xor_b32 s3, exec_lo, s3
	s_cbranch_execz .LBB9_73
; %bb.72:
	v_dual_mov_b32 v4, 0 :: v_dual_mov_b32 v5, s1
	global_atomic_min_i32 v4, v5, s[18:19] scope:SCOPE_DEV
.LBB9_73:
	s_wait_alu 0xfffe
	s_or_b32 exec_lo, exec_lo, s0
	v_cmp_eq_f32_e32 vcc_lo, 0, v0
	s_and_b32 s0, s2, vcc_lo
	s_wait_alu 0xfffe
	s_and_b32 exec_lo, exec_lo, s0
	s_cbranch_execz .LBB9_78
; %bb.74:
	s_mov_b32 s1, exec_lo
	s_brev_b32 s0, -2
.LBB9_75:                               ; =>This Inner Loop Header: Depth=1
	s_wait_alu 0xfffe
	s_ctz_i32_b32 s2, s1
	s_wait_alu 0xfffe
	v_readlane_b32 s3, v3, s2
	s_lshl_b32 s2, 1, s2
	s_wait_alu 0xfffe
	s_and_not1_b32 s1, s1, s2
	s_min_i32 s0, s0, s3
	s_wait_alu 0xfffe
	s_cmp_lg_u32 s1, 0
	s_cbranch_scc1 .LBB9_75
; %bb.76:
	v_mbcnt_lo_u32_b32 v0, exec_lo, 0
	s_mov_b32 s1, exec_lo
	s_delay_alu instid0(VALU_DEP_1)
	v_cmpx_eq_u32_e32 0, v0
	s_wait_alu 0xfffe
	s_xor_b32 s1, exec_lo, s1
	s_cbranch_execz .LBB9_78
; %bb.77:
	v_dual_mov_b32 v0, 0 :: v_dual_mov_b32 v3, s0
	global_atomic_min_i32 v0, v3, s[16:17] scope:SCOPE_DEV
.LBB9_78:
	s_wait_alu 0xfffe
	s_or_b32 exec_lo, exec_lo, s4
	v_cmp_eq_u32_e32 vcc_lo, 0, v13
	s_wait_loadcnt 0x0
	s_wait_storecnt 0x0
	global_inv scope:SCOPE_DEV
	s_and_b32 exec_lo, exec_lo, vcc_lo
	s_cbranch_execz .LBB9_80
; %bb.79:
	v_add_co_u32 v0, vcc_lo, s12, v1
	s_wait_alu 0xfffd
	v_add_co_ci_u32_e64 v1, null, s13, v2, vcc_lo
	v_mov_b32_e32 v2, 1
	s_wait_loadcnt 0x0
	global_store_b32 v[0:1], v2, off scope:SCOPE_DEV
.LBB9_80:
	s_endpgm
	.section	.rodata,"a",@progbits
	.p2align	6, 0x0
	.amdhsa_kernel _ZN9rocsparseL12csrilu0_hashILj256ELj64ELj4EfEEviPKiS2_PT2_S2_PiS2_S5_S5_d21rocsparse_index_base_imNS_24const_host_device_scalarIfEENS7_IdEENS7_IS3_EEb
		.amdhsa_group_segment_fixed_size 8192
		.amdhsa_private_segment_fixed_size 0
		.amdhsa_kernarg_size 124
		.amdhsa_user_sgpr_count 2
		.amdhsa_user_sgpr_dispatch_ptr 0
		.amdhsa_user_sgpr_queue_ptr 0
		.amdhsa_user_sgpr_kernarg_segment_ptr 1
		.amdhsa_user_sgpr_dispatch_id 0
		.amdhsa_user_sgpr_private_segment_size 0
		.amdhsa_wavefront_size32 1
		.amdhsa_uses_dynamic_stack 0
		.amdhsa_enable_private_segment 0
		.amdhsa_system_sgpr_workgroup_id_x 1
		.amdhsa_system_sgpr_workgroup_id_y 0
		.amdhsa_system_sgpr_workgroup_id_z 0
		.amdhsa_system_sgpr_workgroup_info 0
		.amdhsa_system_vgpr_workitem_id 0
		.amdhsa_next_free_vgpr 22
		.amdhsa_next_free_sgpr 42
		.amdhsa_reserve_vcc 1
		.amdhsa_float_round_mode_32 0
		.amdhsa_float_round_mode_16_64 0
		.amdhsa_float_denorm_mode_32 3
		.amdhsa_float_denorm_mode_16_64 3
		.amdhsa_fp16_overflow 0
		.amdhsa_workgroup_processor_mode 1
		.amdhsa_memory_ordered 1
		.amdhsa_forward_progress 1
		.amdhsa_inst_pref_size 26
		.amdhsa_round_robin_scheduling 0
		.amdhsa_exception_fp_ieee_invalid_op 0
		.amdhsa_exception_fp_denorm_src 0
		.amdhsa_exception_fp_ieee_div_zero 0
		.amdhsa_exception_fp_ieee_overflow 0
		.amdhsa_exception_fp_ieee_underflow 0
		.amdhsa_exception_fp_ieee_inexact 0
		.amdhsa_exception_int_div_zero 0
	.end_amdhsa_kernel
	.section	.text._ZN9rocsparseL12csrilu0_hashILj256ELj64ELj4EfEEviPKiS2_PT2_S2_PiS2_S5_S5_d21rocsparse_index_base_imNS_24const_host_device_scalarIfEENS7_IdEENS7_IS3_EEb,"axG",@progbits,_ZN9rocsparseL12csrilu0_hashILj256ELj64ELj4EfEEviPKiS2_PT2_S2_PiS2_S5_S5_d21rocsparse_index_base_imNS_24const_host_device_scalarIfEENS7_IdEENS7_IS3_EEb,comdat
.Lfunc_end9:
	.size	_ZN9rocsparseL12csrilu0_hashILj256ELj64ELj4EfEEviPKiS2_PT2_S2_PiS2_S5_S5_d21rocsparse_index_base_imNS_24const_host_device_scalarIfEENS7_IdEENS7_IS3_EEb, .Lfunc_end9-_ZN9rocsparseL12csrilu0_hashILj256ELj64ELj4EfEEviPKiS2_PT2_S2_PiS2_S5_S5_d21rocsparse_index_base_imNS_24const_host_device_scalarIfEENS7_IdEENS7_IS3_EEb
                                        ; -- End function
	.set _ZN9rocsparseL12csrilu0_hashILj256ELj64ELj4EfEEviPKiS2_PT2_S2_PiS2_S5_S5_d21rocsparse_index_base_imNS_24const_host_device_scalarIfEENS7_IdEENS7_IS3_EEb.num_vgpr, 22
	.set _ZN9rocsparseL12csrilu0_hashILj256ELj64ELj4EfEEviPKiS2_PT2_S2_PiS2_S5_S5_d21rocsparse_index_base_imNS_24const_host_device_scalarIfEENS7_IdEENS7_IS3_EEb.num_agpr, 0
	.set _ZN9rocsparseL12csrilu0_hashILj256ELj64ELj4EfEEviPKiS2_PT2_S2_PiS2_S5_S5_d21rocsparse_index_base_imNS_24const_host_device_scalarIfEENS7_IdEENS7_IS3_EEb.numbered_sgpr, 42
	.set _ZN9rocsparseL12csrilu0_hashILj256ELj64ELj4EfEEviPKiS2_PT2_S2_PiS2_S5_S5_d21rocsparse_index_base_imNS_24const_host_device_scalarIfEENS7_IdEENS7_IS3_EEb.num_named_barrier, 0
	.set _ZN9rocsparseL12csrilu0_hashILj256ELj64ELj4EfEEviPKiS2_PT2_S2_PiS2_S5_S5_d21rocsparse_index_base_imNS_24const_host_device_scalarIfEENS7_IdEENS7_IS3_EEb.private_seg_size, 0
	.set _ZN9rocsparseL12csrilu0_hashILj256ELj64ELj4EfEEviPKiS2_PT2_S2_PiS2_S5_S5_d21rocsparse_index_base_imNS_24const_host_device_scalarIfEENS7_IdEENS7_IS3_EEb.uses_vcc, 1
	.set _ZN9rocsparseL12csrilu0_hashILj256ELj64ELj4EfEEviPKiS2_PT2_S2_PiS2_S5_S5_d21rocsparse_index_base_imNS_24const_host_device_scalarIfEENS7_IdEENS7_IS3_EEb.uses_flat_scratch, 0
	.set _ZN9rocsparseL12csrilu0_hashILj256ELj64ELj4EfEEviPKiS2_PT2_S2_PiS2_S5_S5_d21rocsparse_index_base_imNS_24const_host_device_scalarIfEENS7_IdEENS7_IS3_EEb.has_dyn_sized_stack, 0
	.set _ZN9rocsparseL12csrilu0_hashILj256ELj64ELj4EfEEviPKiS2_PT2_S2_PiS2_S5_S5_d21rocsparse_index_base_imNS_24const_host_device_scalarIfEENS7_IdEENS7_IS3_EEb.has_recursion, 0
	.set _ZN9rocsparseL12csrilu0_hashILj256ELj64ELj4EfEEviPKiS2_PT2_S2_PiS2_S5_S5_d21rocsparse_index_base_imNS_24const_host_device_scalarIfEENS7_IdEENS7_IS3_EEb.has_indirect_call, 0
	.section	.AMDGPU.csdata,"",@progbits
; Kernel info:
; codeLenInByte = 3204
; TotalNumSgprs: 44
; NumVgprs: 22
; ScratchSize: 0
; MemoryBound: 0
; FloatMode: 240
; IeeeMode: 1
; LDSByteSize: 8192 bytes/workgroup (compile time only)
; SGPRBlocks: 0
; VGPRBlocks: 2
; NumSGPRsForWavesPerEU: 44
; NumVGPRsForWavesPerEU: 22
; Occupancy: 16
; WaveLimiterHint : 1
; COMPUTE_PGM_RSRC2:SCRATCH_EN: 0
; COMPUTE_PGM_RSRC2:USER_SGPR: 2
; COMPUTE_PGM_RSRC2:TRAP_HANDLER: 0
; COMPUTE_PGM_RSRC2:TGID_X_EN: 1
; COMPUTE_PGM_RSRC2:TGID_Y_EN: 0
; COMPUTE_PGM_RSRC2:TGID_Z_EN: 0
; COMPUTE_PGM_RSRC2:TIDIG_COMP_CNT: 0
	.section	.text._ZN9rocsparseL12csrilu0_hashILj256ELj64ELj8EfEEviPKiS2_PT2_S2_PiS2_S5_S5_d21rocsparse_index_base_imNS_24const_host_device_scalarIfEENS7_IdEENS7_IS3_EEb,"axG",@progbits,_ZN9rocsparseL12csrilu0_hashILj256ELj64ELj8EfEEviPKiS2_PT2_S2_PiS2_S5_S5_d21rocsparse_index_base_imNS_24const_host_device_scalarIfEENS7_IdEENS7_IS3_EEb,comdat
	.globl	_ZN9rocsparseL12csrilu0_hashILj256ELj64ELj8EfEEviPKiS2_PT2_S2_PiS2_S5_S5_d21rocsparse_index_base_imNS_24const_host_device_scalarIfEENS7_IdEENS7_IS3_EEb ; -- Begin function _ZN9rocsparseL12csrilu0_hashILj256ELj64ELj8EfEEviPKiS2_PT2_S2_PiS2_S5_S5_d21rocsparse_index_base_imNS_24const_host_device_scalarIfEENS7_IdEENS7_IS3_EEb
	.p2align	8
	.type	_ZN9rocsparseL12csrilu0_hashILj256ELj64ELj8EfEEviPKiS2_PT2_S2_PiS2_S5_S5_d21rocsparse_index_base_imNS_24const_host_device_scalarIfEENS7_IdEENS7_IS3_EEb,@function
_ZN9rocsparseL12csrilu0_hashILj256ELj64ELj8EfEEviPKiS2_PT2_S2_PiS2_S5_S5_d21rocsparse_index_base_imNS_24const_host_device_scalarIfEENS7_IdEENS7_IS3_EEb: ; @_ZN9rocsparseL12csrilu0_hashILj256ELj64ELj8EfEEviPKiS2_PT2_S2_PiS2_S5_S5_d21rocsparse_index_base_imNS_24const_host_device_scalarIfEENS7_IdEENS7_IS3_EEb
; %bb.0:
	s_clause 0x2
	s_load_b32 s2, s[0:1], 0x78
	s_load_b64 s[28:29], s[0:1], 0x50
	s_load_b256 s[20:27], s[0:1], 0x58
	s_wait_kmcnt 0x0
	s_bitcmp1_b32 s2, 0
	s_cselect_b32 s2, -1, 0
	s_cmp_eq_u32 s29, 0
	s_cselect_b32 s4, -1, 0
	s_cmp_lg_u32 s29, 0
	s_cselect_b32 s29, -1, 0
	s_or_b32 s6, s4, s2
	s_delay_alu instid0(SALU_CYCLE_1)
	s_xor_b32 s5, s6, -1
	s_and_b32 s2, s4, exec_lo
	s_cselect_b32 s3, 0, s25
	s_cselect_b32 s2, 0, s24
	;; [unrolled: 1-line block ×3, first 2 shown]
	s_and_b32 vcc_lo, exec_lo, s6
	s_cbranch_vccnz .LBB10_2
; %bb.1:
	s_load_b32 s30, s[22:23], 0x0
	s_mov_b64 s[2:3], s[24:25]
.LBB10_2:
	v_cndmask_b32_e64 v1, 0, 1, s5
	v_dual_mov_b32 v4, s3 :: v_dual_mov_b32 v3, s2
	s_and_not1_b32 vcc_lo, exec_lo, s5
	s_cbranch_vccnz .LBB10_4
; %bb.3:
	v_dual_mov_b32 v2, s24 :: v_dual_mov_b32 v3, s25
	flat_load_b64 v[3:4], v[2:3]
.LBB10_4:
	s_delay_alu instid0(VALU_DEP_2)
	v_cmp_ne_u32_e32 vcc_lo, 1, v1
	s_and_b32 s2, s4, exec_lo
	s_cselect_b32 s3, 0, s26
	s_mov_b32 s2, 0
	s_cbranch_vccnz .LBB10_6
; %bb.5:
	s_load_b32 s3, s[26:27], 0x0
.LBB10_6:
	v_lshrrev_b32_e32 v1, 6, v0
	v_and_b32_e32 v13, 63, v0
	s_delay_alu instid0(VALU_DEP_2) | instskip(NEXT) | instid1(VALU_DEP_2)
	v_lshlrev_b32_e32 v5, 11, v1
	v_lshlrev_b32_e32 v6, 2, v13
	s_delay_alu instid0(VALU_DEP_1)
	v_or3_b32 v5, v5, v6, 0x2000
	v_mov_b32_e32 v6, -1
	v_or_b32_e32 v2, 0xffffffc0, v13
.LBB10_7:                               ; =>This Inner Loop Header: Depth=1
	s_delay_alu instid0(VALU_DEP_1)
	v_add_nc_u32_e32 v2, 64, v2
	ds_store_b32 v5, v6
	v_add_nc_u32_e32 v5, 0x100, v5
	v_cmp_lt_u32_e32 vcc_lo, 0x1bf, v2
	s_wait_alu 0xfffe
	s_or_b32 s2, vcc_lo, s2
	s_wait_alu 0xfffe
	s_and_not1_b32 exec_lo, exec_lo, s2
	s_cbranch_execnz .LBB10_7
; %bb.8:
	s_or_b32 exec_lo, exec_lo, s2
	s_load_b32 s2, s[0:1], 0x0
	s_lshl_b32 s4, ttmp9, 2
	s_wait_loadcnt_dscnt 0x0
	global_inv scope:SCOPE_SE
	s_wait_alu 0xfffe
	v_and_or_b32 v1, 0x3fffffc, s4, v1
	s_wait_kmcnt 0x0
	s_delay_alu instid0(VALU_DEP_1)
	v_cmp_gt_i32_e32 vcc_lo, s2, v1
	s_and_saveexec_b32 s2, vcc_lo
	s_cbranch_execz .LBB10_80
; %bb.9:
	s_load_b512 s[4:19], s[0:1], 0x8
	v_lshlrev_b32_e32 v1, 2, v1
	v_lshlrev_b32_e32 v0, 5, v0
	s_mov_b32 s2, exec_lo
	s_delay_alu instid0(VALU_DEP_1) | instskip(NEXT) | instid1(VALU_DEP_1)
	v_and_b32_e32 v0, 0x1800, v0
	v_or_b32_e32 v14, 0x2000, v0
	s_wait_kmcnt 0x0
	global_load_b32 v5, v1, s[14:15]
	s_wait_loadcnt 0x0
	v_ashrrev_i32_e32 v6, 31, v5
	s_delay_alu instid0(VALU_DEP_1) | instskip(NEXT) | instid1(VALU_DEP_1)
	v_lshlrev_b64_e32 v[1:2], 2, v[5:6]
	v_add_co_u32 v6, vcc_lo, s4, v1
	s_delay_alu instid0(VALU_DEP_1)
	v_add_co_ci_u32_e64 v7, null, s5, v2, vcc_lo
	v_add_co_u32 v9, vcc_lo, s10, v1
	s_wait_alu 0xfffd
	v_add_co_ci_u32_e64 v10, null, s11, v2, vcc_lo
	global_load_b64 v[7:8], v[6:7], off
	global_load_b32 v6, v[9:10], off
	s_wait_loadcnt 0x1
	v_subrev_nc_u32_e32 v7, s28, v7
	v_subrev_nc_u32_e32 v10, s28, v8
	s_delay_alu instid0(VALU_DEP_2) | instskip(NEXT) | instid1(VALU_DEP_1)
	v_add_nc_u32_e32 v8, v7, v13
	v_cmpx_lt_i32_e64 v8, v10
	s_cbranch_execz .LBB10_32
; %bb.10:
	v_mov_b32_e32 v11, -1
	s_mov_b32 s14, 0
	s_branch .LBB10_12
.LBB10_11:                              ;   in Loop: Header=BB10_12 Depth=1
	s_or_b32 exec_lo, exec_lo, s15
	v_add_nc_u32_e32 v8, 64, v8
	s_delay_alu instid0(VALU_DEP_1) | instskip(SKIP_1) | instid1(SALU_CYCLE_1)
	v_cmp_ge_i32_e32 vcc_lo, v8, v10
	s_or_b32 s14, vcc_lo, s14
	s_and_not1_b32 exec_lo, exec_lo, s14
	s_cbranch_execz .LBB10_32
.LBB10_12:                              ; =>This Loop Header: Depth=1
                                        ;     Child Loop BB10_21 Depth 2
	v_ashrrev_i32_e32 v9, 31, v8
	v_mov_b32_e32 v12, 0x200
	s_mov_b32 s15, 0
                                        ; implicit-def: $sgpr22
                                        ; implicit-def: $sgpr23
                                        ; implicit-def: $sgpr24
	s_delay_alu instid0(VALU_DEP_2) | instskip(NEXT) | instid1(VALU_DEP_1)
	v_lshlrev_b64_e32 v[15:16], 2, v[8:9]
	v_add_co_u32 v15, vcc_lo, s6, v15
	s_wait_alu 0xfffd
	s_delay_alu instid0(VALU_DEP_2)
	v_add_co_ci_u32_e64 v16, null, s7, v16, vcc_lo
	global_load_b32 v9, v[15:16], off
	s_wait_loadcnt 0x0
	v_mul_lo_u32 v16, 0x67, v9
	s_branch .LBB10_21
.LBB10_13:                              ;   in Loop: Header=BB10_21 Depth=2
	s_or_b32 exec_lo, exec_lo, s38
	s_delay_alu instid0(SALU_CYCLE_1)
	s_or_not1_b32 s36, s36, exec_lo
	s_or_not1_b32 s37, s37, exec_lo
.LBB10_14:                              ;   in Loop: Header=BB10_21 Depth=2
	s_or_b32 exec_lo, exec_lo, s35
	s_delay_alu instid0(SALU_CYCLE_1)
	s_and_b32 s36, s36, exec_lo
	s_or_not1_b32 s35, s37, exec_lo
.LBB10_15:                              ;   in Loop: Header=BB10_21 Depth=2
	s_or_b32 exec_lo, exec_lo, s34
	s_delay_alu instid0(SALU_CYCLE_1)
	s_or_not1_b32 s34, s36, exec_lo
	s_or_not1_b32 s35, s35, exec_lo
.LBB10_16:                              ;   in Loop: Header=BB10_21 Depth=2
	s_or_b32 exec_lo, exec_lo, s33
	s_delay_alu instid0(SALU_CYCLE_1)
	s_and_b32 s34, s34, exec_lo
	s_or_not1_b32 s33, s35, exec_lo
.LBB10_17:                              ;   in Loop: Header=BB10_21 Depth=2
	s_or_b32 exec_lo, exec_lo, s31
	s_delay_alu instid0(SALU_CYCLE_1)
	s_or_not1_b32 s31, s34, exec_lo
	s_or_not1_b32 s33, s33, exec_lo
.LBB10_18:                              ;   in Loop: Header=BB10_21 Depth=2
	s_or_b32 exec_lo, exec_lo, s27
	s_delay_alu instid0(SALU_CYCLE_1)
	s_and_b32 s31, s31, exec_lo
	s_or_not1_b32 s27, s33, exec_lo
.LBB10_19:                              ;   in Loop: Header=BB10_21 Depth=2
	s_or_b32 exec_lo, exec_lo, s26
	s_wait_alu 0xfffe
	s_and_not1_b32 s24, s24, exec_lo
	s_and_b32 s26, s31, exec_lo
	s_and_not1_b32 s23, s23, exec_lo
	s_and_b32 s27, s27, exec_lo
	s_wait_alu 0xfffe
	s_or_b32 s24, s24, s26
	s_or_b32 s23, s23, s27
.LBB10_20:                              ;   in Loop: Header=BB10_21 Depth=2
	s_wait_alu 0xfffe
	s_or_b32 exec_lo, exec_lo, s25
	s_delay_alu instid0(SALU_CYCLE_1)
	s_and_b32 s25, exec_lo, s23
	s_wait_alu 0xfffe
	s_or_b32 s15, s25, s15
	s_and_not1_b32 s22, s22, exec_lo
	s_and_b32 s25, s24, exec_lo
	s_wait_alu 0xfffe
	s_or_b32 s22, s22, s25
	s_and_not1_b32 exec_lo, exec_lo, s15
	s_cbranch_execz .LBB10_30
.LBB10_21:                              ;   Parent Loop BB10_12 Depth=1
                                        ; =>  This Inner Loop Header: Depth=2
	s_delay_alu instid0(VALU_DEP_1) | instskip(SKIP_3) | instid1(VALU_DEP_1)
	v_and_b32_e32 v15, 0x1ff, v16
	s_or_b32 s24, s24, exec_lo
	s_or_b32 s23, s23, exec_lo
	s_mov_b32 s25, exec_lo
	v_lshl_add_u32 v17, v15, 2, v14
	ds_load_b32 v18, v17
	s_wait_dscnt 0x0
	v_cmpx_ne_u32_e64 v18, v9
	s_cbranch_execz .LBB10_20
; %bb.22:                               ;   in Loop: Header=BB10_21 Depth=2
	ds_cmpstore_rtn_b32 v17, v17, v9, v11
	s_mov_b32 s27, -1
	s_mov_b32 s31, 0
	s_mov_b32 s26, exec_lo
	s_wait_dscnt 0x0
	v_cmpx_ne_u32_e32 -1, v17
	s_cbranch_execz .LBB10_19
; %bb.23:                               ;   in Loop: Header=BB10_21 Depth=2
	v_add_nc_u32_e32 v15, 1, v16
	s_mov_b32 s33, -1
	s_mov_b32 s31, -1
	s_mov_b32 s27, exec_lo
	s_delay_alu instid0(VALU_DEP_1) | instskip(NEXT) | instid1(VALU_DEP_1)
	v_and_b32_e32 v15, 0x1ff, v15
	v_lshl_add_u32 v17, v15, 2, v14
	ds_load_b32 v18, v17
	s_wait_dscnt 0x0
	v_cmpx_ne_u32_e64 v18, v9
	s_cbranch_execz .LBB10_18
; %bb.24:                               ;   in Loop: Header=BB10_21 Depth=2
	ds_cmpstore_rtn_b32 v17, v17, v9, v11
	s_mov_b32 s34, 0
	s_mov_b32 s31, exec_lo
	s_wait_dscnt 0x0
	v_cmpx_ne_u32_e32 -1, v17
	s_cbranch_execz .LBB10_17
; %bb.25:                               ;   in Loop: Header=BB10_21 Depth=2
	v_add_nc_u32_e32 v15, 2, v16
	s_mov_b32 s35, -1
	s_mov_b32 s34, -1
	s_mov_b32 s33, exec_lo
	s_delay_alu instid0(VALU_DEP_1) | instskip(NEXT) | instid1(VALU_DEP_1)
	v_and_b32_e32 v15, 0x1ff, v15
	v_lshl_add_u32 v17, v15, 2, v14
	ds_load_b32 v18, v17
	s_wait_dscnt 0x0
	v_cmpx_ne_u32_e64 v18, v9
	s_cbranch_execz .LBB10_16
; %bb.26:                               ;   in Loop: Header=BB10_21 Depth=2
	ds_cmpstore_rtn_b32 v17, v17, v9, v11
	s_mov_b32 s36, 0
	s_mov_b32 s34, exec_lo
	s_wait_dscnt 0x0
	v_cmpx_ne_u32_e32 -1, v17
	s_cbranch_execz .LBB10_15
; %bb.27:                               ;   in Loop: Header=BB10_21 Depth=2
	v_add_nc_u32_e32 v15, 3, v16
	s_mov_b32 s37, -1
	s_mov_b32 s36, -1
	s_delay_alu instid0(VALU_DEP_1) | instskip(NEXT) | instid1(VALU_DEP_1)
	v_and_b32_e32 v15, 0x1ff, v15
	v_lshl_add_u32 v17, v15, 2, v14
	ds_load_b32 v16, v17
	s_wait_dscnt 0x0
	v_cmp_ne_u32_e32 vcc_lo, v16, v9
                                        ; implicit-def: $vgpr16
	s_and_saveexec_b32 s35, vcc_lo
	s_cbranch_execz .LBB10_14
; %bb.28:                               ;   in Loop: Header=BB10_21 Depth=2
	ds_cmpstore_rtn_b32 v16, v17, v9, v11
	s_mov_b32 s36, 0
	s_wait_dscnt 0x0
	v_cmp_ne_u32_e32 vcc_lo, -1, v16
                                        ; implicit-def: $vgpr16
	s_and_saveexec_b32 s38, vcc_lo
	s_cbranch_execz .LBB10_13
; %bb.29:                               ;   in Loop: Header=BB10_21 Depth=2
	v_add_nc_u32_e32 v12, -4, v12
	v_add_nc_u32_e32 v16, 1, v15
	s_mov_b32 s36, exec_lo
	s_delay_alu instid0(VALU_DEP_2)
	v_cmp_eq_u32_e32 vcc_lo, 0, v12
	s_or_not1_b32 s37, vcc_lo, exec_lo
	s_branch .LBB10_13
.LBB10_30:                              ;   in Loop: Header=BB10_12 Depth=1
	s_or_b32 exec_lo, exec_lo, s15
	s_xor_b32 s15, s22, -1
	s_delay_alu instid0(SALU_CYCLE_1) | instskip(NEXT) | instid1(SALU_CYCLE_1)
	s_and_saveexec_b32 s22, s15
	s_xor_b32 s15, exec_lo, s22
	s_cbranch_execz .LBB10_11
; %bb.31:                               ;   in Loop: Header=BB10_12 Depth=1
	v_lshl_add_u32 v9, v15, 2, v0
	ds_store_b32 v9, v8
	s_branch .LBB10_11
.LBB10_32:
	s_wait_alu 0xfffe
	s_or_b32 exec_lo, exec_lo, s2
	s_delay_alu instid0(SALU_CYCLE_1)
	s_mov_b32 s2, exec_lo
	s_wait_loadcnt_dscnt 0x0
	global_inv scope:SCOPE_SE
	v_cmpx_lt_i32_e64 v7, v6
	s_cbranch_execz .LBB10_62
; %bb.33:
	v_add_nc_u32_e32 v15, 1, v13
	s_mov_b32 s14, 0
	s_branch .LBB10_36
.LBB10_34:                              ;   in Loop: Header=BB10_36 Depth=1
	s_or_b32 exec_lo, exec_lo, s22
	v_add_nc_u32_e32 v7, 1, v7
	s_delay_alu instid0(VALU_DEP_1)
	v_cmp_ge_i32_e32 vcc_lo, v7, v6
	s_or_not1_b32 s22, vcc_lo, exec_lo
.LBB10_35:                              ;   in Loop: Header=BB10_36 Depth=1
	s_or_b32 exec_lo, exec_lo, s15
	s_delay_alu instid0(SALU_CYCLE_1) | instskip(NEXT) | instid1(SALU_CYCLE_1)
	s_and_b32 s15, exec_lo, s22
	s_or_b32 s14, s15, s14
	s_delay_alu instid0(SALU_CYCLE_1)
	s_and_not1_b32 exec_lo, exec_lo, s14
	s_cbranch_execz .LBB10_62
.LBB10_36:                              ; =>This Loop Header: Depth=1
                                        ;     Child Loop BB10_37 Depth 2
                                        ;     Child Loop BB10_42 Depth 2
                                        ;       Child Loop BB10_51 Depth 3
	v_ashrrev_i32_e32 v8, 31, v7
	s_mov_b32 s15, 0
	s_delay_alu instid0(VALU_DEP_1) | instskip(NEXT) | instid1(VALU_DEP_1)
	v_lshlrev_b64_e32 v[9:10], 2, v[7:8]
	v_add_co_u32 v11, vcc_lo, s6, v9
	s_wait_alu 0xfffd
	s_delay_alu instid0(VALU_DEP_2)
	v_add_co_ci_u32_e64 v12, null, s7, v10, vcc_lo
	v_add_co_u32 v9, vcc_lo, s8, v9
	s_wait_alu 0xfffd
	v_add_co_ci_u32_e64 v10, null, s9, v10, vcc_lo
	global_load_b32 v8, v[11:12], off
	s_wait_loadcnt 0x0
	v_subrev_nc_u32_e32 v11, s28, v8
	s_delay_alu instid0(VALU_DEP_1) | instskip(NEXT) | instid1(VALU_DEP_1)
	v_ashrrev_i32_e32 v12, 31, v11
	v_lshlrev_b64_e32 v[11:12], 2, v[11:12]
	s_delay_alu instid0(VALU_DEP_1) | instskip(SKIP_1) | instid1(VALU_DEP_2)
	v_add_co_u32 v18, vcc_lo, s4, v11
	s_wait_alu 0xfffd
	v_add_co_ci_u32_e64 v19, null, s5, v12, vcc_lo
	v_add_co_u32 v20, vcc_lo, s10, v11
	s_wait_alu 0xfffd
	v_add_co_ci_u32_e64 v21, null, s11, v12, vcc_lo
	global_load_b32 v17, v[9:10], off
	global_load_b32 v8, v[18:19], off offset:4
	global_load_b32 v18, v[20:21], off
	v_add_co_u32 v11, vcc_lo, s12, v11
	s_wait_alu 0xfffd
	v_add_co_ci_u32_e64 v12, null, s13, v12, vcc_lo
.LBB10_37:                              ;   Parent Loop BB10_36 Depth=1
                                        ; =>  This Inner Loop Header: Depth=2
	global_load_b32 v16, v[11:12], off scope:SCOPE_DEV
	s_wait_loadcnt 0x0
	v_cmp_ne_u32_e32 vcc_lo, 0, v16
	s_or_b32 s15, vcc_lo, s15
	s_delay_alu instid0(SALU_CYCLE_1)
	s_and_not1_b32 exec_lo, exec_lo, s15
	s_cbranch_execnz .LBB10_37
; %bb.38:                               ;   in Loop: Header=BB10_36 Depth=1
	s_or_b32 exec_lo, exec_lo, s15
	v_subrev_nc_u32_e32 v16, s28, v8
	v_cmp_eq_u32_e32 vcc_lo, -1, v18
	global_inv scope:SCOPE_DEV
	s_mov_b32 s22, -1
	s_mov_b32 s15, exec_lo
	v_add_nc_u32_e32 v8, -1, v16
	s_wait_alu 0xfffd
	s_delay_alu instid0(VALU_DEP_1) | instskip(NEXT) | instid1(VALU_DEP_1)
	v_cndmask_b32_e32 v11, v18, v8, vcc_lo
	v_ashrrev_i32_e32 v12, 31, v11
	s_delay_alu instid0(VALU_DEP_1) | instskip(NEXT) | instid1(VALU_DEP_1)
	v_lshlrev_b64_e32 v[18:19], 2, v[11:12]
	v_add_co_u32 v18, vcc_lo, s8, v18
	s_wait_alu 0xfffd
	s_delay_alu instid0(VALU_DEP_2)
	v_add_co_ci_u32_e64 v19, null, s9, v19, vcc_lo
	global_load_b32 v12, v[18:19], off
	s_wait_loadcnt 0x0
	v_cmpx_neq_f32_e32 0, v12
	s_cbranch_execz .LBB10_35
; %bb.39:                               ;   in Loop: Header=BB10_36 Depth=1
	v_div_scale_f32 v8, null, v12, v12, v17
	s_mov_b32 s22, exec_lo
	v_rcp_f32_e32 v18, v8
	s_delay_alu instid0(TRANS32_DEP_1) | instskip(NEXT) | instid1(VALU_DEP_1)
	v_fma_f32 v19, -v8, v18, 1.0
	v_fmac_f32_e32 v18, v19, v18
	v_div_scale_f32 v19, vcc_lo, v17, v12, v17
	s_delay_alu instid0(VALU_DEP_1) | instskip(NEXT) | instid1(VALU_DEP_1)
	v_mul_f32_e32 v20, v19, v18
	v_fma_f32 v21, -v8, v20, v19
	s_delay_alu instid0(VALU_DEP_1) | instskip(NEXT) | instid1(VALU_DEP_1)
	v_fmac_f32_e32 v20, v21, v18
	v_fma_f32 v8, -v8, v20, v19
	s_wait_alu 0xfffd
	s_delay_alu instid0(VALU_DEP_1) | instskip(SKIP_1) | instid1(VALU_DEP_2)
	v_div_fmas_f32 v18, v8, v18, v20
	v_add_nc_u32_e32 v8, v15, v11
	v_div_fixup_f32 v11, v18, v12, v17
	global_store_b32 v[9:10], v11, off
	v_cmpx_lt_i32_e64 v8, v16
	s_cbranch_execz .LBB10_34
; %bb.40:                               ;   in Loop: Header=BB10_36 Depth=1
	s_mov_b32 s23, 0
	s_branch .LBB10_42
.LBB10_41:                              ;   in Loop: Header=BB10_42 Depth=2
	s_wait_alu 0xfffe
	s_or_b32 exec_lo, exec_lo, s24
	v_add_nc_u32_e32 v8, 64, v8
	s_delay_alu instid0(VALU_DEP_1) | instskip(SKIP_1) | instid1(SALU_CYCLE_1)
	v_cmp_ge_i32_e32 vcc_lo, v8, v16
	s_or_b32 s23, vcc_lo, s23
	s_and_not1_b32 exec_lo, exec_lo, s23
	s_cbranch_execz .LBB10_34
.LBB10_42:                              ;   Parent Loop BB10_36 Depth=1
                                        ; =>  This Loop Header: Depth=2
                                        ;       Child Loop BB10_51 Depth 3
	v_ashrrev_i32_e32 v9, 31, v8
	s_mov_b32 s24, 0
                                        ; implicit-def: $sgpr25
                                        ; implicit-def: $sgpr26
                                        ; implicit-def: $sgpr27
	s_delay_alu instid0(VALU_DEP_1) | instskip(NEXT) | instid1(VALU_DEP_1)
	v_lshlrev_b64_e32 v[9:10], 2, v[8:9]
	v_add_co_u32 v17, vcc_lo, s6, v9
	s_wait_alu 0xfffd
	s_delay_alu instid0(VALU_DEP_2)
	v_add_co_ci_u32_e64 v18, null, s7, v10, vcc_lo
	global_load_b32 v12, v[17:18], off
	v_mov_b32_e32 v17, 0x200
	s_wait_loadcnt 0x0
	v_mul_lo_u32 v19, 0x67, v12
	s_branch .LBB10_51
.LBB10_43:                              ;   in Loop: Header=BB10_51 Depth=3
	s_or_b32 exec_lo, exec_lo, s41
	s_delay_alu instid0(SALU_CYCLE_1)
	s_or_not1_b32 s39, s39, exec_lo
	s_or_not1_b32 s40, s40, exec_lo
.LBB10_44:                              ;   in Loop: Header=BB10_51 Depth=3
	s_or_b32 exec_lo, exec_lo, s38
	s_delay_alu instid0(SALU_CYCLE_1)
	s_and_b32 s39, s39, exec_lo
	s_or_not1_b32 s38, s40, exec_lo
.LBB10_45:                              ;   in Loop: Header=BB10_51 Depth=3
	s_or_b32 exec_lo, exec_lo, s37
	s_delay_alu instid0(SALU_CYCLE_1)
	s_or_not1_b32 s37, s39, exec_lo
	s_or_not1_b32 s38, s38, exec_lo
.LBB10_46:                              ;   in Loop: Header=BB10_51 Depth=3
	s_or_b32 exec_lo, exec_lo, s36
	s_delay_alu instid0(SALU_CYCLE_1)
	s_and_b32 s37, s37, exec_lo
	s_or_not1_b32 s36, s38, exec_lo
.LBB10_47:                              ;   in Loop: Header=BB10_51 Depth=3
	s_or_b32 exec_lo, exec_lo, s35
	s_delay_alu instid0(SALU_CYCLE_1)
	s_or_not1_b32 s35, s37, exec_lo
	s_or_not1_b32 s36, s36, exec_lo
.LBB10_48:                              ;   in Loop: Header=BB10_51 Depth=3
	s_or_b32 exec_lo, exec_lo, s34
	s_delay_alu instid0(SALU_CYCLE_1)
	s_and_b32 s35, s35, exec_lo
	s_or_not1_b32 s34, s36, exec_lo
.LBB10_49:                              ;   in Loop: Header=BB10_51 Depth=3
	s_or_b32 exec_lo, exec_lo, s33
	s_delay_alu instid0(SALU_CYCLE_1)
	s_and_not1_b32 s27, s27, exec_lo
	s_and_b32 s33, s35, exec_lo
	s_and_not1_b32 s26, s26, exec_lo
	s_and_b32 s34, s34, exec_lo
	s_or_b32 s27, s27, s33
	s_or_b32 s26, s26, s34
.LBB10_50:                              ;   in Loop: Header=BB10_51 Depth=3
	s_or_b32 exec_lo, exec_lo, s31
	s_delay_alu instid0(SALU_CYCLE_1)
	s_and_b32 s31, exec_lo, s26
	s_wait_alu 0xfffe
	s_or_b32 s24, s31, s24
	s_and_not1_b32 s25, s25, exec_lo
	s_and_b32 s31, s27, exec_lo
	s_wait_alu 0xfffe
	s_or_b32 s25, s25, s31
	s_and_not1_b32 exec_lo, exec_lo, s24
	s_cbranch_execz .LBB10_60
.LBB10_51:                              ;   Parent Loop BB10_36 Depth=1
                                        ;     Parent Loop BB10_42 Depth=2
                                        ; =>    This Inner Loop Header: Depth=3
	s_delay_alu instid0(VALU_DEP_1) | instskip(SKIP_3) | instid1(VALU_DEP_1)
	v_and_b32_e32 v18, 0x1ff, v19
	s_or_b32 s27, s27, exec_lo
	s_or_b32 s26, s26, exec_lo
	s_mov_b32 s31, exec_lo
	v_lshl_add_u32 v20, v18, 2, v14
	ds_load_b32 v20, v20
	s_wait_dscnt 0x0
	v_cmpx_ne_u32_e32 -1, v20
	s_cbranch_execz .LBB10_50
; %bb.52:                               ;   in Loop: Header=BB10_51 Depth=3
	s_mov_b32 s34, -1
	s_mov_b32 s35, 0
	s_mov_b32 s33, exec_lo
	v_cmpx_ne_u32_e64 v20, v12
	s_cbranch_execz .LBB10_49
; %bb.53:                               ;   in Loop: Header=BB10_51 Depth=3
	v_add_nc_u32_e32 v18, 1, v19
	s_mov_b32 s36, -1
	s_mov_b32 s35, -1
	s_mov_b32 s34, exec_lo
	s_delay_alu instid0(VALU_DEP_1) | instskip(NEXT) | instid1(VALU_DEP_1)
	v_and_b32_e32 v18, 0x1ff, v18
	v_lshl_add_u32 v20, v18, 2, v14
	ds_load_b32 v20, v20
	s_wait_dscnt 0x0
	v_cmpx_ne_u32_e32 -1, v20
	s_cbranch_execz .LBB10_48
; %bb.54:                               ;   in Loop: Header=BB10_51 Depth=3
	s_mov_b32 s37, 0
	s_mov_b32 s35, exec_lo
	v_cmpx_ne_u32_e64 v20, v12
	s_cbranch_execz .LBB10_47
; %bb.55:                               ;   in Loop: Header=BB10_51 Depth=3
	v_add_nc_u32_e32 v18, 2, v19
	s_mov_b32 s38, -1
	s_mov_b32 s37, -1
	s_mov_b32 s36, exec_lo
	s_delay_alu instid0(VALU_DEP_1) | instskip(NEXT) | instid1(VALU_DEP_1)
	v_and_b32_e32 v18, 0x1ff, v18
	v_lshl_add_u32 v20, v18, 2, v14
	ds_load_b32 v20, v20
	s_wait_dscnt 0x0
	v_cmpx_ne_u32_e32 -1, v20
	s_cbranch_execz .LBB10_46
; %bb.56:                               ;   in Loop: Header=BB10_51 Depth=3
	s_mov_b32 s39, 0
	s_mov_b32 s37, exec_lo
	v_cmpx_ne_u32_e64 v20, v12
	s_cbranch_execz .LBB10_45
; %bb.57:                               ;   in Loop: Header=BB10_51 Depth=3
	v_add_nc_u32_e32 v18, 3, v19
	s_mov_b32 s40, -1
	s_mov_b32 s39, -1
	s_mov_b32 s38, exec_lo
	s_delay_alu instid0(VALU_DEP_1) | instskip(NEXT) | instid1(VALU_DEP_1)
	v_and_b32_e32 v18, 0x1ff, v18
	v_lshl_add_u32 v19, v18, 2, v14
	ds_load_b32 v20, v19
                                        ; implicit-def: $vgpr19
	s_wait_dscnt 0x0
	v_cmpx_ne_u32_e32 -1, v20
	s_cbranch_execz .LBB10_44
; %bb.58:                               ;   in Loop: Header=BB10_51 Depth=3
	s_mov_b32 s39, 0
	s_mov_b32 s41, exec_lo
                                        ; implicit-def: $vgpr19
	v_cmpx_ne_u32_e64 v20, v12
	s_cbranch_execz .LBB10_43
; %bb.59:                               ;   in Loop: Header=BB10_51 Depth=3
	v_add_nc_u32_e32 v17, -4, v17
	v_add_nc_u32_e32 v19, 1, v18
	s_mov_b32 s39, exec_lo
	s_delay_alu instid0(VALU_DEP_2)
	v_cmp_eq_u32_e32 vcc_lo, 0, v17
	s_or_not1_b32 s40, vcc_lo, exec_lo
	s_branch .LBB10_43
.LBB10_60:                              ;   in Loop: Header=BB10_42 Depth=2
	s_or_b32 exec_lo, exec_lo, s24
	s_wait_alu 0xfffe
	s_xor_b32 s24, s25, -1
	s_wait_alu 0xfffe
	s_and_saveexec_b32 s25, s24
	s_wait_alu 0xfffe
	s_xor_b32 s24, exec_lo, s25
	s_cbranch_execz .LBB10_41
; %bb.61:                               ;   in Loop: Header=BB10_42 Depth=2
	v_lshl_add_u32 v12, v18, 2, v0
	v_add_co_u32 v9, vcc_lo, s8, v9
	s_wait_alu 0xfffd
	v_add_co_ci_u32_e64 v10, null, s9, v10, vcc_lo
	ds_load_b32 v17, v12
	s_wait_dscnt 0x0
	v_ashrrev_i32_e32 v18, 31, v17
	s_delay_alu instid0(VALU_DEP_1) | instskip(NEXT) | instid1(VALU_DEP_1)
	v_lshlrev_b64_e32 v[17:18], 2, v[17:18]
	v_add_co_u32 v17, vcc_lo, s8, v17
	s_wait_alu 0xfffd
	s_delay_alu instid0(VALU_DEP_2)
	v_add_co_ci_u32_e64 v18, null, s9, v18, vcc_lo
	s_clause 0x1
	global_load_b32 v9, v[9:10], off
	global_load_b32 v10, v[17:18], off
	s_wait_loadcnt 0x0
	v_fma_f32 v9, -v11, v9, v10
	global_store_b32 v[17:18], v9, off
	s_branch .LBB10_41
.LBB10_62:
	s_wait_alu 0xfffe
	s_or_b32 exec_lo, exec_lo, s2
	s_mov_b32 s5, -1
	s_mov_b32 s4, exec_lo
	s_wait_loadcnt 0x0
	s_wait_storecnt 0x0
	global_inv scope:SCOPE_SE
	v_cmpx_lt_i32_e32 -1, v6
	s_cbranch_execz .LBB10_78
; %bb.63:
	v_mov_b32_e32 v7, 0
	v_cmp_eq_u32_e64 s2, 0, v13
	s_delay_alu instid0(VALU_DEP_2) | instskip(NEXT) | instid1(VALU_DEP_1)
	v_lshlrev_b64_e32 v[6:7], 2, v[6:7]
	v_add_co_u32 v8, vcc_lo, s8, v6
	s_wait_alu 0xfffd
	s_delay_alu instid0(VALU_DEP_2)
	v_add_co_ci_u32_e64 v9, null, s9, v7, vcc_lo
	global_load_b32 v0, v[8:9], off
	s_wait_loadcnt 0x0
	v_cmp_gt_f32_e32 vcc_lo, 0, v0
	s_wait_alu 0xfffd
	v_cndmask_b32_e64 v6, v0, -v0, vcc_lo
	s_and_not1_b32 vcc_lo, exec_lo, s29
	s_delay_alu instid0(VALU_DEP_1)
	v_cvt_f64_f32_e32 v[6:7], v6
	s_wait_alu 0xfffe
	s_cbranch_vccnz .LBB10_67
; %bb.64:
	v_cvt_f64_f32_e32 v[10:11], s30
	s_cmp_eq_u64 s[20:21], 8
	s_cselect_b32 vcc_lo, -1, 0
	s_wait_alu 0xfffe
	s_delay_alu instid0(VALU_DEP_1) | instskip(NEXT) | instid1(VALU_DEP_1)
	v_dual_cndmask_b32 v4, v11, v4 :: v_dual_cndmask_b32 v3, v10, v3
	v_cmp_ge_f64_e32 vcc_lo, v[3:4], v[6:7]
	s_and_b32 s6, s2, vcc_lo
	s_wait_alu 0xfffe
	s_and_saveexec_b32 s5, s6
	s_cbranch_execz .LBB10_66
; %bb.65:
	v_mov_b32_e32 v3, s3
	global_store_b32 v[8:9], v3, off
	s_wait_storecnt 0x0
	global_inv scope:SCOPE_DEV
.LBB10_66:
	s_wait_alu 0xfffe
	s_or_b32 exec_lo, exec_lo, s5
	s_mov_b32 s5, 0
.LBB10_67:
	s_wait_alu 0xfffe
	s_and_not1_b32 vcc_lo, exec_lo, s5
	s_wait_alu 0xfffe
	s_cbranch_vccnz .LBB10_78
; %bb.68:
	s_load_b64 s[0:1], s[0:1], 0x48
	v_add_nc_u32_e32 v3, s28, v5
	s_wait_kmcnt 0x0
	s_delay_alu instid0(VALU_DEP_2)
	v_cmp_ge_f64_e32 vcc_lo, s[0:1], v[6:7]
	s_and_b32 s1, s2, vcc_lo
	s_wait_alu 0xfffe
	s_and_saveexec_b32 s0, s1
	s_cbranch_execz .LBB10_73
; %bb.69:
	s_mov_b32 s3, exec_lo
	s_brev_b32 s1, -2
.LBB10_70:                              ; =>This Inner Loop Header: Depth=1
	s_wait_alu 0xfffe
	s_ctz_i32_b32 s5, s3
	s_wait_alu 0xfffe
	v_readlane_b32 s6, v3, s5
	s_lshl_b32 s5, 1, s5
	s_wait_alu 0xfffe
	s_and_not1_b32 s3, s3, s5
	s_min_i32 s1, s1, s6
	s_wait_alu 0xfffe
	s_cmp_lg_u32 s3, 0
	s_cbranch_scc1 .LBB10_70
; %bb.71:
	v_mbcnt_lo_u32_b32 v4, exec_lo, 0
	s_mov_b32 s3, exec_lo
	s_delay_alu instid0(VALU_DEP_1)
	v_cmpx_eq_u32_e32 0, v4
	s_wait_alu 0xfffe
	s_xor_b32 s3, exec_lo, s3
	s_cbranch_execz .LBB10_73
; %bb.72:
	v_dual_mov_b32 v4, 0 :: v_dual_mov_b32 v5, s1
	global_atomic_min_i32 v4, v5, s[18:19] scope:SCOPE_DEV
.LBB10_73:
	s_wait_alu 0xfffe
	s_or_b32 exec_lo, exec_lo, s0
	v_cmp_eq_f32_e32 vcc_lo, 0, v0
	s_and_b32 s0, s2, vcc_lo
	s_wait_alu 0xfffe
	s_and_b32 exec_lo, exec_lo, s0
	s_cbranch_execz .LBB10_78
; %bb.74:
	s_mov_b32 s1, exec_lo
	s_brev_b32 s0, -2
.LBB10_75:                              ; =>This Inner Loop Header: Depth=1
	s_wait_alu 0xfffe
	s_ctz_i32_b32 s2, s1
	s_wait_alu 0xfffe
	v_readlane_b32 s3, v3, s2
	s_lshl_b32 s2, 1, s2
	s_wait_alu 0xfffe
	s_and_not1_b32 s1, s1, s2
	s_min_i32 s0, s0, s3
	s_wait_alu 0xfffe
	s_cmp_lg_u32 s1, 0
	s_cbranch_scc1 .LBB10_75
; %bb.76:
	v_mbcnt_lo_u32_b32 v0, exec_lo, 0
	s_mov_b32 s1, exec_lo
	s_delay_alu instid0(VALU_DEP_1)
	v_cmpx_eq_u32_e32 0, v0
	s_wait_alu 0xfffe
	s_xor_b32 s1, exec_lo, s1
	s_cbranch_execz .LBB10_78
; %bb.77:
	v_dual_mov_b32 v0, 0 :: v_dual_mov_b32 v3, s0
	global_atomic_min_i32 v0, v3, s[16:17] scope:SCOPE_DEV
.LBB10_78:
	s_wait_alu 0xfffe
	s_or_b32 exec_lo, exec_lo, s4
	v_cmp_eq_u32_e32 vcc_lo, 0, v13
	s_wait_loadcnt 0x0
	s_wait_storecnt 0x0
	global_inv scope:SCOPE_DEV
	s_and_b32 exec_lo, exec_lo, vcc_lo
	s_cbranch_execz .LBB10_80
; %bb.79:
	v_add_co_u32 v0, vcc_lo, s12, v1
	s_wait_alu 0xfffd
	v_add_co_ci_u32_e64 v1, null, s13, v2, vcc_lo
	v_mov_b32_e32 v2, 1
	s_wait_loadcnt 0x0
	global_store_b32 v[0:1], v2, off scope:SCOPE_DEV
.LBB10_80:
	s_endpgm
	.section	.rodata,"a",@progbits
	.p2align	6, 0x0
	.amdhsa_kernel _ZN9rocsparseL12csrilu0_hashILj256ELj64ELj8EfEEviPKiS2_PT2_S2_PiS2_S5_S5_d21rocsparse_index_base_imNS_24const_host_device_scalarIfEENS7_IdEENS7_IS3_EEb
		.amdhsa_group_segment_fixed_size 16384
		.amdhsa_private_segment_fixed_size 0
		.amdhsa_kernarg_size 124
		.amdhsa_user_sgpr_count 2
		.amdhsa_user_sgpr_dispatch_ptr 0
		.amdhsa_user_sgpr_queue_ptr 0
		.amdhsa_user_sgpr_kernarg_segment_ptr 1
		.amdhsa_user_sgpr_dispatch_id 0
		.amdhsa_user_sgpr_private_segment_size 0
		.amdhsa_wavefront_size32 1
		.amdhsa_uses_dynamic_stack 0
		.amdhsa_enable_private_segment 0
		.amdhsa_system_sgpr_workgroup_id_x 1
		.amdhsa_system_sgpr_workgroup_id_y 0
		.amdhsa_system_sgpr_workgroup_id_z 0
		.amdhsa_system_sgpr_workgroup_info 0
		.amdhsa_system_vgpr_workitem_id 0
		.amdhsa_next_free_vgpr 22
		.amdhsa_next_free_sgpr 42
		.amdhsa_reserve_vcc 1
		.amdhsa_float_round_mode_32 0
		.amdhsa_float_round_mode_16_64 0
		.amdhsa_float_denorm_mode_32 3
		.amdhsa_float_denorm_mode_16_64 3
		.amdhsa_fp16_overflow 0
		.amdhsa_workgroup_processor_mode 1
		.amdhsa_memory_ordered 1
		.amdhsa_forward_progress 1
		.amdhsa_inst_pref_size 26
		.amdhsa_round_robin_scheduling 0
		.amdhsa_exception_fp_ieee_invalid_op 0
		.amdhsa_exception_fp_denorm_src 0
		.amdhsa_exception_fp_ieee_div_zero 0
		.amdhsa_exception_fp_ieee_overflow 0
		.amdhsa_exception_fp_ieee_underflow 0
		.amdhsa_exception_fp_ieee_inexact 0
		.amdhsa_exception_int_div_zero 0
	.end_amdhsa_kernel
	.section	.text._ZN9rocsparseL12csrilu0_hashILj256ELj64ELj8EfEEviPKiS2_PT2_S2_PiS2_S5_S5_d21rocsparse_index_base_imNS_24const_host_device_scalarIfEENS7_IdEENS7_IS3_EEb,"axG",@progbits,_ZN9rocsparseL12csrilu0_hashILj256ELj64ELj8EfEEviPKiS2_PT2_S2_PiS2_S5_S5_d21rocsparse_index_base_imNS_24const_host_device_scalarIfEENS7_IdEENS7_IS3_EEb,comdat
.Lfunc_end10:
	.size	_ZN9rocsparseL12csrilu0_hashILj256ELj64ELj8EfEEviPKiS2_PT2_S2_PiS2_S5_S5_d21rocsparse_index_base_imNS_24const_host_device_scalarIfEENS7_IdEENS7_IS3_EEb, .Lfunc_end10-_ZN9rocsparseL12csrilu0_hashILj256ELj64ELj8EfEEviPKiS2_PT2_S2_PiS2_S5_S5_d21rocsparse_index_base_imNS_24const_host_device_scalarIfEENS7_IdEENS7_IS3_EEb
                                        ; -- End function
	.set _ZN9rocsparseL12csrilu0_hashILj256ELj64ELj8EfEEviPKiS2_PT2_S2_PiS2_S5_S5_d21rocsparse_index_base_imNS_24const_host_device_scalarIfEENS7_IdEENS7_IS3_EEb.num_vgpr, 22
	.set _ZN9rocsparseL12csrilu0_hashILj256ELj64ELj8EfEEviPKiS2_PT2_S2_PiS2_S5_S5_d21rocsparse_index_base_imNS_24const_host_device_scalarIfEENS7_IdEENS7_IS3_EEb.num_agpr, 0
	.set _ZN9rocsparseL12csrilu0_hashILj256ELj64ELj8EfEEviPKiS2_PT2_S2_PiS2_S5_S5_d21rocsparse_index_base_imNS_24const_host_device_scalarIfEENS7_IdEENS7_IS3_EEb.numbered_sgpr, 42
	.set _ZN9rocsparseL12csrilu0_hashILj256ELj64ELj8EfEEviPKiS2_PT2_S2_PiS2_S5_S5_d21rocsparse_index_base_imNS_24const_host_device_scalarIfEENS7_IdEENS7_IS3_EEb.num_named_barrier, 0
	.set _ZN9rocsparseL12csrilu0_hashILj256ELj64ELj8EfEEviPKiS2_PT2_S2_PiS2_S5_S5_d21rocsparse_index_base_imNS_24const_host_device_scalarIfEENS7_IdEENS7_IS3_EEb.private_seg_size, 0
	.set _ZN9rocsparseL12csrilu0_hashILj256ELj64ELj8EfEEviPKiS2_PT2_S2_PiS2_S5_S5_d21rocsparse_index_base_imNS_24const_host_device_scalarIfEENS7_IdEENS7_IS3_EEb.uses_vcc, 1
	.set _ZN9rocsparseL12csrilu0_hashILj256ELj64ELj8EfEEviPKiS2_PT2_S2_PiS2_S5_S5_d21rocsparse_index_base_imNS_24const_host_device_scalarIfEENS7_IdEENS7_IS3_EEb.uses_flat_scratch, 0
	.set _ZN9rocsparseL12csrilu0_hashILj256ELj64ELj8EfEEviPKiS2_PT2_S2_PiS2_S5_S5_d21rocsparse_index_base_imNS_24const_host_device_scalarIfEENS7_IdEENS7_IS3_EEb.has_dyn_sized_stack, 0
	.set _ZN9rocsparseL12csrilu0_hashILj256ELj64ELj8EfEEviPKiS2_PT2_S2_PiS2_S5_S5_d21rocsparse_index_base_imNS_24const_host_device_scalarIfEENS7_IdEENS7_IS3_EEb.has_recursion, 0
	.set _ZN9rocsparseL12csrilu0_hashILj256ELj64ELj8EfEEviPKiS2_PT2_S2_PiS2_S5_S5_d21rocsparse_index_base_imNS_24const_host_device_scalarIfEENS7_IdEENS7_IS3_EEb.has_indirect_call, 0
	.section	.AMDGPU.csdata,"",@progbits
; Kernel info:
; codeLenInByte = 3204
; TotalNumSgprs: 44
; NumVgprs: 22
; ScratchSize: 0
; MemoryBound: 0
; FloatMode: 240
; IeeeMode: 1
; LDSByteSize: 16384 bytes/workgroup (compile time only)
; SGPRBlocks: 0
; VGPRBlocks: 2
; NumSGPRsForWavesPerEU: 44
; NumVGPRsForWavesPerEU: 22
; Occupancy: 16
; WaveLimiterHint : 1
; COMPUTE_PGM_RSRC2:SCRATCH_EN: 0
; COMPUTE_PGM_RSRC2:USER_SGPR: 2
; COMPUTE_PGM_RSRC2:TRAP_HANDLER: 0
; COMPUTE_PGM_RSRC2:TGID_X_EN: 1
; COMPUTE_PGM_RSRC2:TGID_Y_EN: 0
; COMPUTE_PGM_RSRC2:TGID_Z_EN: 0
; COMPUTE_PGM_RSRC2:TIDIG_COMP_CNT: 0
	.section	.text._ZN9rocsparseL12csrilu0_hashILj256ELj64ELj16EfEEviPKiS2_PT2_S2_PiS2_S5_S5_d21rocsparse_index_base_imNS_24const_host_device_scalarIfEENS7_IdEENS7_IS3_EEb,"axG",@progbits,_ZN9rocsparseL12csrilu0_hashILj256ELj64ELj16EfEEviPKiS2_PT2_S2_PiS2_S5_S5_d21rocsparse_index_base_imNS_24const_host_device_scalarIfEENS7_IdEENS7_IS3_EEb,comdat
	.globl	_ZN9rocsparseL12csrilu0_hashILj256ELj64ELj16EfEEviPKiS2_PT2_S2_PiS2_S5_S5_d21rocsparse_index_base_imNS_24const_host_device_scalarIfEENS7_IdEENS7_IS3_EEb ; -- Begin function _ZN9rocsparseL12csrilu0_hashILj256ELj64ELj16EfEEviPKiS2_PT2_S2_PiS2_S5_S5_d21rocsparse_index_base_imNS_24const_host_device_scalarIfEENS7_IdEENS7_IS3_EEb
	.p2align	8
	.type	_ZN9rocsparseL12csrilu0_hashILj256ELj64ELj16EfEEviPKiS2_PT2_S2_PiS2_S5_S5_d21rocsparse_index_base_imNS_24const_host_device_scalarIfEENS7_IdEENS7_IS3_EEb,@function
_ZN9rocsparseL12csrilu0_hashILj256ELj64ELj16EfEEviPKiS2_PT2_S2_PiS2_S5_S5_d21rocsparse_index_base_imNS_24const_host_device_scalarIfEENS7_IdEENS7_IS3_EEb: ; @_ZN9rocsparseL12csrilu0_hashILj256ELj64ELj16EfEEviPKiS2_PT2_S2_PiS2_S5_S5_d21rocsparse_index_base_imNS_24const_host_device_scalarIfEENS7_IdEENS7_IS3_EEb
; %bb.0:
	s_clause 0x2
	s_load_b32 s2, s[0:1], 0x78
	s_load_b64 s[28:29], s[0:1], 0x50
	s_load_b256 s[20:27], s[0:1], 0x58
	s_wait_kmcnt 0x0
	s_bitcmp1_b32 s2, 0
	s_cselect_b32 s2, -1, 0
	s_cmp_eq_u32 s29, 0
	s_cselect_b32 s4, -1, 0
	s_cmp_lg_u32 s29, 0
	s_cselect_b32 s29, -1, 0
	s_or_b32 s6, s4, s2
	s_delay_alu instid0(SALU_CYCLE_1)
	s_xor_b32 s5, s6, -1
	s_and_b32 s2, s4, exec_lo
	s_cselect_b32 s3, 0, s25
	s_cselect_b32 s2, 0, s24
	;; [unrolled: 1-line block ×3, first 2 shown]
	s_and_b32 vcc_lo, exec_lo, s6
	s_cbranch_vccnz .LBB11_2
; %bb.1:
	s_load_b32 s30, s[22:23], 0x0
	s_mov_b64 s[2:3], s[24:25]
.LBB11_2:
	v_cndmask_b32_e64 v1, 0, 1, s5
	v_dual_mov_b32 v4, s3 :: v_dual_mov_b32 v3, s2
	s_and_not1_b32 vcc_lo, exec_lo, s5
	s_cbranch_vccnz .LBB11_4
; %bb.3:
	v_dual_mov_b32 v2, s24 :: v_dual_mov_b32 v3, s25
	flat_load_b64 v[3:4], v[2:3]
.LBB11_4:
	s_delay_alu instid0(VALU_DEP_2)
	v_cmp_ne_u32_e32 vcc_lo, 1, v1
	s_and_b32 s2, s4, exec_lo
	s_cselect_b32 s3, 0, s26
	s_mov_b32 s2, 0
	s_cbranch_vccnz .LBB11_6
; %bb.5:
	s_load_b32 s3, s[26:27], 0x0
.LBB11_6:
	v_lshrrev_b32_e32 v1, 6, v0
	v_and_b32_e32 v13, 63, v0
	s_delay_alu instid0(VALU_DEP_2) | instskip(NEXT) | instid1(VALU_DEP_2)
	v_lshlrev_b32_e32 v5, 12, v1
	v_lshlrev_b32_e32 v6, 2, v13
	s_delay_alu instid0(VALU_DEP_1)
	v_or3_b32 v5, v5, v6, 0x4000
	v_mov_b32_e32 v6, -1
	v_or_b32_e32 v2, 0xffffffc0, v13
.LBB11_7:                               ; =>This Inner Loop Header: Depth=1
	s_delay_alu instid0(VALU_DEP_1)
	v_add_nc_u32_e32 v2, 64, v2
	ds_store_b32 v5, v6
	v_add_nc_u32_e32 v5, 0x100, v5
	v_cmp_lt_u32_e32 vcc_lo, 0x3bf, v2
	s_wait_alu 0xfffe
	s_or_b32 s2, vcc_lo, s2
	s_wait_alu 0xfffe
	s_and_not1_b32 exec_lo, exec_lo, s2
	s_cbranch_execnz .LBB11_7
; %bb.8:
	s_or_b32 exec_lo, exec_lo, s2
	s_load_b32 s2, s[0:1], 0x0
	s_lshl_b32 s4, ttmp9, 2
	s_wait_loadcnt_dscnt 0x0
	global_inv scope:SCOPE_SE
	s_wait_alu 0xfffe
	v_and_or_b32 v1, 0x3fffffc, s4, v1
	s_wait_kmcnt 0x0
	s_delay_alu instid0(VALU_DEP_1)
	v_cmp_gt_i32_e32 vcc_lo, s2, v1
	s_and_saveexec_b32 s2, vcc_lo
	s_cbranch_execz .LBB11_80
; %bb.9:
	s_load_b512 s[4:19], s[0:1], 0x8
	v_lshlrev_b32_e32 v1, 2, v1
	v_lshlrev_b32_e32 v0, 6, v0
	s_mov_b32 s2, exec_lo
	s_delay_alu instid0(VALU_DEP_1) | instskip(NEXT) | instid1(VALU_DEP_1)
	v_and_b32_e32 v0, 0x3000, v0
	v_or_b32_e32 v14, 0x4000, v0
	s_wait_kmcnt 0x0
	global_load_b32 v5, v1, s[14:15]
	s_wait_loadcnt 0x0
	v_ashrrev_i32_e32 v6, 31, v5
	s_delay_alu instid0(VALU_DEP_1) | instskip(NEXT) | instid1(VALU_DEP_1)
	v_lshlrev_b64_e32 v[1:2], 2, v[5:6]
	v_add_co_u32 v6, vcc_lo, s4, v1
	s_delay_alu instid0(VALU_DEP_1)
	v_add_co_ci_u32_e64 v7, null, s5, v2, vcc_lo
	v_add_co_u32 v9, vcc_lo, s10, v1
	s_wait_alu 0xfffd
	v_add_co_ci_u32_e64 v10, null, s11, v2, vcc_lo
	global_load_b64 v[7:8], v[6:7], off
	global_load_b32 v6, v[9:10], off
	s_wait_loadcnt 0x1
	v_subrev_nc_u32_e32 v7, s28, v7
	v_subrev_nc_u32_e32 v10, s28, v8
	s_delay_alu instid0(VALU_DEP_2) | instskip(NEXT) | instid1(VALU_DEP_1)
	v_add_nc_u32_e32 v8, v7, v13
	v_cmpx_lt_i32_e64 v8, v10
	s_cbranch_execz .LBB11_32
; %bb.10:
	v_mov_b32_e32 v11, -1
	s_mov_b32 s14, 0
	s_branch .LBB11_12
.LBB11_11:                              ;   in Loop: Header=BB11_12 Depth=1
	s_or_b32 exec_lo, exec_lo, s15
	v_add_nc_u32_e32 v8, 64, v8
	s_delay_alu instid0(VALU_DEP_1) | instskip(SKIP_1) | instid1(SALU_CYCLE_1)
	v_cmp_ge_i32_e32 vcc_lo, v8, v10
	s_or_b32 s14, vcc_lo, s14
	s_and_not1_b32 exec_lo, exec_lo, s14
	s_cbranch_execz .LBB11_32
.LBB11_12:                              ; =>This Loop Header: Depth=1
                                        ;     Child Loop BB11_21 Depth 2
	v_ashrrev_i32_e32 v9, 31, v8
	v_mov_b32_e32 v12, 0x400
	s_mov_b32 s15, 0
                                        ; implicit-def: $sgpr22
                                        ; implicit-def: $sgpr23
                                        ; implicit-def: $sgpr24
	s_delay_alu instid0(VALU_DEP_2) | instskip(NEXT) | instid1(VALU_DEP_1)
	v_lshlrev_b64_e32 v[15:16], 2, v[8:9]
	v_add_co_u32 v15, vcc_lo, s6, v15
	s_wait_alu 0xfffd
	s_delay_alu instid0(VALU_DEP_2)
	v_add_co_ci_u32_e64 v16, null, s7, v16, vcc_lo
	global_load_b32 v9, v[15:16], off
	s_wait_loadcnt 0x0
	v_mul_lo_u32 v16, 0x67, v9
	s_branch .LBB11_21
.LBB11_13:                              ;   in Loop: Header=BB11_21 Depth=2
	s_or_b32 exec_lo, exec_lo, s38
	s_delay_alu instid0(SALU_CYCLE_1)
	s_or_not1_b32 s36, s36, exec_lo
	s_or_not1_b32 s37, s37, exec_lo
.LBB11_14:                              ;   in Loop: Header=BB11_21 Depth=2
	s_or_b32 exec_lo, exec_lo, s35
	s_delay_alu instid0(SALU_CYCLE_1)
	s_and_b32 s36, s36, exec_lo
	s_or_not1_b32 s35, s37, exec_lo
.LBB11_15:                              ;   in Loop: Header=BB11_21 Depth=2
	s_or_b32 exec_lo, exec_lo, s34
	s_delay_alu instid0(SALU_CYCLE_1)
	s_or_not1_b32 s34, s36, exec_lo
	s_or_not1_b32 s35, s35, exec_lo
.LBB11_16:                              ;   in Loop: Header=BB11_21 Depth=2
	s_or_b32 exec_lo, exec_lo, s33
	s_delay_alu instid0(SALU_CYCLE_1)
	s_and_b32 s34, s34, exec_lo
	s_or_not1_b32 s33, s35, exec_lo
.LBB11_17:                              ;   in Loop: Header=BB11_21 Depth=2
	s_or_b32 exec_lo, exec_lo, s31
	s_delay_alu instid0(SALU_CYCLE_1)
	s_or_not1_b32 s31, s34, exec_lo
	s_or_not1_b32 s33, s33, exec_lo
.LBB11_18:                              ;   in Loop: Header=BB11_21 Depth=2
	s_or_b32 exec_lo, exec_lo, s27
	s_delay_alu instid0(SALU_CYCLE_1)
	s_and_b32 s31, s31, exec_lo
	s_or_not1_b32 s27, s33, exec_lo
.LBB11_19:                              ;   in Loop: Header=BB11_21 Depth=2
	s_or_b32 exec_lo, exec_lo, s26
	s_wait_alu 0xfffe
	s_and_not1_b32 s24, s24, exec_lo
	s_and_b32 s26, s31, exec_lo
	s_and_not1_b32 s23, s23, exec_lo
	s_and_b32 s27, s27, exec_lo
	s_wait_alu 0xfffe
	s_or_b32 s24, s24, s26
	s_or_b32 s23, s23, s27
.LBB11_20:                              ;   in Loop: Header=BB11_21 Depth=2
	s_wait_alu 0xfffe
	s_or_b32 exec_lo, exec_lo, s25
	s_delay_alu instid0(SALU_CYCLE_1)
	s_and_b32 s25, exec_lo, s23
	s_wait_alu 0xfffe
	s_or_b32 s15, s25, s15
	s_and_not1_b32 s22, s22, exec_lo
	s_and_b32 s25, s24, exec_lo
	s_wait_alu 0xfffe
	s_or_b32 s22, s22, s25
	s_and_not1_b32 exec_lo, exec_lo, s15
	s_cbranch_execz .LBB11_30
.LBB11_21:                              ;   Parent Loop BB11_12 Depth=1
                                        ; =>  This Inner Loop Header: Depth=2
	s_delay_alu instid0(VALU_DEP_1) | instskip(SKIP_3) | instid1(VALU_DEP_1)
	v_and_b32_e32 v15, 0x3ff, v16
	s_or_b32 s24, s24, exec_lo
	s_or_b32 s23, s23, exec_lo
	s_mov_b32 s25, exec_lo
	v_lshl_add_u32 v17, v15, 2, v14
	ds_load_b32 v18, v17
	s_wait_dscnt 0x0
	v_cmpx_ne_u32_e64 v18, v9
	s_cbranch_execz .LBB11_20
; %bb.22:                               ;   in Loop: Header=BB11_21 Depth=2
	ds_cmpstore_rtn_b32 v17, v17, v9, v11
	s_mov_b32 s27, -1
	s_mov_b32 s31, 0
	s_mov_b32 s26, exec_lo
	s_wait_dscnt 0x0
	v_cmpx_ne_u32_e32 -1, v17
	s_cbranch_execz .LBB11_19
; %bb.23:                               ;   in Loop: Header=BB11_21 Depth=2
	v_add_nc_u32_e32 v15, 1, v16
	s_mov_b32 s33, -1
	s_mov_b32 s31, -1
	s_mov_b32 s27, exec_lo
	s_delay_alu instid0(VALU_DEP_1) | instskip(NEXT) | instid1(VALU_DEP_1)
	v_and_b32_e32 v15, 0x3ff, v15
	v_lshl_add_u32 v17, v15, 2, v14
	ds_load_b32 v18, v17
	s_wait_dscnt 0x0
	v_cmpx_ne_u32_e64 v18, v9
	s_cbranch_execz .LBB11_18
; %bb.24:                               ;   in Loop: Header=BB11_21 Depth=2
	ds_cmpstore_rtn_b32 v17, v17, v9, v11
	s_mov_b32 s34, 0
	s_mov_b32 s31, exec_lo
	s_wait_dscnt 0x0
	v_cmpx_ne_u32_e32 -1, v17
	s_cbranch_execz .LBB11_17
; %bb.25:                               ;   in Loop: Header=BB11_21 Depth=2
	v_add_nc_u32_e32 v15, 2, v16
	s_mov_b32 s35, -1
	s_mov_b32 s34, -1
	s_mov_b32 s33, exec_lo
	s_delay_alu instid0(VALU_DEP_1) | instskip(NEXT) | instid1(VALU_DEP_1)
	v_and_b32_e32 v15, 0x3ff, v15
	v_lshl_add_u32 v17, v15, 2, v14
	ds_load_b32 v18, v17
	s_wait_dscnt 0x0
	v_cmpx_ne_u32_e64 v18, v9
	s_cbranch_execz .LBB11_16
; %bb.26:                               ;   in Loop: Header=BB11_21 Depth=2
	ds_cmpstore_rtn_b32 v17, v17, v9, v11
	s_mov_b32 s36, 0
	s_mov_b32 s34, exec_lo
	s_wait_dscnt 0x0
	v_cmpx_ne_u32_e32 -1, v17
	s_cbranch_execz .LBB11_15
; %bb.27:                               ;   in Loop: Header=BB11_21 Depth=2
	v_add_nc_u32_e32 v15, 3, v16
	s_mov_b32 s37, -1
	s_mov_b32 s36, -1
	s_delay_alu instid0(VALU_DEP_1) | instskip(NEXT) | instid1(VALU_DEP_1)
	v_and_b32_e32 v15, 0x3ff, v15
	v_lshl_add_u32 v17, v15, 2, v14
	ds_load_b32 v16, v17
	s_wait_dscnt 0x0
	v_cmp_ne_u32_e32 vcc_lo, v16, v9
                                        ; implicit-def: $vgpr16
	s_and_saveexec_b32 s35, vcc_lo
	s_cbranch_execz .LBB11_14
; %bb.28:                               ;   in Loop: Header=BB11_21 Depth=2
	ds_cmpstore_rtn_b32 v16, v17, v9, v11
	s_mov_b32 s36, 0
	s_wait_dscnt 0x0
	v_cmp_ne_u32_e32 vcc_lo, -1, v16
                                        ; implicit-def: $vgpr16
	s_and_saveexec_b32 s38, vcc_lo
	s_cbranch_execz .LBB11_13
; %bb.29:                               ;   in Loop: Header=BB11_21 Depth=2
	v_add_nc_u32_e32 v12, -4, v12
	v_add_nc_u32_e32 v16, 1, v15
	s_mov_b32 s36, exec_lo
	s_delay_alu instid0(VALU_DEP_2)
	v_cmp_eq_u32_e32 vcc_lo, 0, v12
	s_or_not1_b32 s37, vcc_lo, exec_lo
	s_branch .LBB11_13
.LBB11_30:                              ;   in Loop: Header=BB11_12 Depth=1
	s_or_b32 exec_lo, exec_lo, s15
	s_xor_b32 s15, s22, -1
	s_delay_alu instid0(SALU_CYCLE_1) | instskip(NEXT) | instid1(SALU_CYCLE_1)
	s_and_saveexec_b32 s22, s15
	s_xor_b32 s15, exec_lo, s22
	s_cbranch_execz .LBB11_11
; %bb.31:                               ;   in Loop: Header=BB11_12 Depth=1
	v_lshl_add_u32 v9, v15, 2, v0
	ds_store_b32 v9, v8
	s_branch .LBB11_11
.LBB11_32:
	s_wait_alu 0xfffe
	s_or_b32 exec_lo, exec_lo, s2
	s_delay_alu instid0(SALU_CYCLE_1)
	s_mov_b32 s2, exec_lo
	s_wait_loadcnt_dscnt 0x0
	global_inv scope:SCOPE_SE
	v_cmpx_lt_i32_e64 v7, v6
	s_cbranch_execz .LBB11_62
; %bb.33:
	v_add_nc_u32_e32 v15, 1, v13
	s_mov_b32 s14, 0
	s_branch .LBB11_36
.LBB11_34:                              ;   in Loop: Header=BB11_36 Depth=1
	s_or_b32 exec_lo, exec_lo, s22
	v_add_nc_u32_e32 v7, 1, v7
	s_delay_alu instid0(VALU_DEP_1)
	v_cmp_ge_i32_e32 vcc_lo, v7, v6
	s_or_not1_b32 s22, vcc_lo, exec_lo
.LBB11_35:                              ;   in Loop: Header=BB11_36 Depth=1
	s_or_b32 exec_lo, exec_lo, s15
	s_delay_alu instid0(SALU_CYCLE_1) | instskip(NEXT) | instid1(SALU_CYCLE_1)
	s_and_b32 s15, exec_lo, s22
	s_or_b32 s14, s15, s14
	s_delay_alu instid0(SALU_CYCLE_1)
	s_and_not1_b32 exec_lo, exec_lo, s14
	s_cbranch_execz .LBB11_62
.LBB11_36:                              ; =>This Loop Header: Depth=1
                                        ;     Child Loop BB11_37 Depth 2
                                        ;     Child Loop BB11_42 Depth 2
                                        ;       Child Loop BB11_51 Depth 3
	v_ashrrev_i32_e32 v8, 31, v7
	s_mov_b32 s15, 0
	s_delay_alu instid0(VALU_DEP_1) | instskip(NEXT) | instid1(VALU_DEP_1)
	v_lshlrev_b64_e32 v[9:10], 2, v[7:8]
	v_add_co_u32 v11, vcc_lo, s6, v9
	s_wait_alu 0xfffd
	s_delay_alu instid0(VALU_DEP_2)
	v_add_co_ci_u32_e64 v12, null, s7, v10, vcc_lo
	v_add_co_u32 v9, vcc_lo, s8, v9
	s_wait_alu 0xfffd
	v_add_co_ci_u32_e64 v10, null, s9, v10, vcc_lo
	global_load_b32 v8, v[11:12], off
	s_wait_loadcnt 0x0
	v_subrev_nc_u32_e32 v11, s28, v8
	s_delay_alu instid0(VALU_DEP_1) | instskip(NEXT) | instid1(VALU_DEP_1)
	v_ashrrev_i32_e32 v12, 31, v11
	v_lshlrev_b64_e32 v[11:12], 2, v[11:12]
	s_delay_alu instid0(VALU_DEP_1) | instskip(SKIP_1) | instid1(VALU_DEP_2)
	v_add_co_u32 v18, vcc_lo, s4, v11
	s_wait_alu 0xfffd
	v_add_co_ci_u32_e64 v19, null, s5, v12, vcc_lo
	v_add_co_u32 v20, vcc_lo, s10, v11
	s_wait_alu 0xfffd
	v_add_co_ci_u32_e64 v21, null, s11, v12, vcc_lo
	global_load_b32 v17, v[9:10], off
	global_load_b32 v8, v[18:19], off offset:4
	global_load_b32 v18, v[20:21], off
	v_add_co_u32 v11, vcc_lo, s12, v11
	s_wait_alu 0xfffd
	v_add_co_ci_u32_e64 v12, null, s13, v12, vcc_lo
.LBB11_37:                              ;   Parent Loop BB11_36 Depth=1
                                        ; =>  This Inner Loop Header: Depth=2
	global_load_b32 v16, v[11:12], off scope:SCOPE_DEV
	s_wait_loadcnt 0x0
	v_cmp_ne_u32_e32 vcc_lo, 0, v16
	s_or_b32 s15, vcc_lo, s15
	s_delay_alu instid0(SALU_CYCLE_1)
	s_and_not1_b32 exec_lo, exec_lo, s15
	s_cbranch_execnz .LBB11_37
; %bb.38:                               ;   in Loop: Header=BB11_36 Depth=1
	s_or_b32 exec_lo, exec_lo, s15
	v_subrev_nc_u32_e32 v16, s28, v8
	v_cmp_eq_u32_e32 vcc_lo, -1, v18
	global_inv scope:SCOPE_DEV
	s_mov_b32 s22, -1
	s_mov_b32 s15, exec_lo
	v_add_nc_u32_e32 v8, -1, v16
	s_wait_alu 0xfffd
	s_delay_alu instid0(VALU_DEP_1) | instskip(NEXT) | instid1(VALU_DEP_1)
	v_cndmask_b32_e32 v11, v18, v8, vcc_lo
	v_ashrrev_i32_e32 v12, 31, v11
	s_delay_alu instid0(VALU_DEP_1) | instskip(NEXT) | instid1(VALU_DEP_1)
	v_lshlrev_b64_e32 v[18:19], 2, v[11:12]
	v_add_co_u32 v18, vcc_lo, s8, v18
	s_wait_alu 0xfffd
	s_delay_alu instid0(VALU_DEP_2)
	v_add_co_ci_u32_e64 v19, null, s9, v19, vcc_lo
	global_load_b32 v12, v[18:19], off
	s_wait_loadcnt 0x0
	v_cmpx_neq_f32_e32 0, v12
	s_cbranch_execz .LBB11_35
; %bb.39:                               ;   in Loop: Header=BB11_36 Depth=1
	v_div_scale_f32 v8, null, v12, v12, v17
	s_mov_b32 s22, exec_lo
	v_rcp_f32_e32 v18, v8
	s_delay_alu instid0(TRANS32_DEP_1) | instskip(NEXT) | instid1(VALU_DEP_1)
	v_fma_f32 v19, -v8, v18, 1.0
	v_fmac_f32_e32 v18, v19, v18
	v_div_scale_f32 v19, vcc_lo, v17, v12, v17
	s_delay_alu instid0(VALU_DEP_1) | instskip(NEXT) | instid1(VALU_DEP_1)
	v_mul_f32_e32 v20, v19, v18
	v_fma_f32 v21, -v8, v20, v19
	s_delay_alu instid0(VALU_DEP_1) | instskip(NEXT) | instid1(VALU_DEP_1)
	v_fmac_f32_e32 v20, v21, v18
	v_fma_f32 v8, -v8, v20, v19
	s_wait_alu 0xfffd
	s_delay_alu instid0(VALU_DEP_1) | instskip(SKIP_1) | instid1(VALU_DEP_2)
	v_div_fmas_f32 v18, v8, v18, v20
	v_add_nc_u32_e32 v8, v15, v11
	v_div_fixup_f32 v11, v18, v12, v17
	global_store_b32 v[9:10], v11, off
	v_cmpx_lt_i32_e64 v8, v16
	s_cbranch_execz .LBB11_34
; %bb.40:                               ;   in Loop: Header=BB11_36 Depth=1
	s_mov_b32 s23, 0
	s_branch .LBB11_42
.LBB11_41:                              ;   in Loop: Header=BB11_42 Depth=2
	s_wait_alu 0xfffe
	s_or_b32 exec_lo, exec_lo, s24
	v_add_nc_u32_e32 v8, 64, v8
	s_delay_alu instid0(VALU_DEP_1) | instskip(SKIP_1) | instid1(SALU_CYCLE_1)
	v_cmp_ge_i32_e32 vcc_lo, v8, v16
	s_or_b32 s23, vcc_lo, s23
	s_and_not1_b32 exec_lo, exec_lo, s23
	s_cbranch_execz .LBB11_34
.LBB11_42:                              ;   Parent Loop BB11_36 Depth=1
                                        ; =>  This Loop Header: Depth=2
                                        ;       Child Loop BB11_51 Depth 3
	v_ashrrev_i32_e32 v9, 31, v8
	s_mov_b32 s24, 0
                                        ; implicit-def: $sgpr25
                                        ; implicit-def: $sgpr26
                                        ; implicit-def: $sgpr27
	s_delay_alu instid0(VALU_DEP_1) | instskip(NEXT) | instid1(VALU_DEP_1)
	v_lshlrev_b64_e32 v[9:10], 2, v[8:9]
	v_add_co_u32 v17, vcc_lo, s6, v9
	s_wait_alu 0xfffd
	s_delay_alu instid0(VALU_DEP_2)
	v_add_co_ci_u32_e64 v18, null, s7, v10, vcc_lo
	global_load_b32 v12, v[17:18], off
	v_mov_b32_e32 v17, 0x400
	s_wait_loadcnt 0x0
	v_mul_lo_u32 v19, 0x67, v12
	s_branch .LBB11_51
.LBB11_43:                              ;   in Loop: Header=BB11_51 Depth=3
	s_or_b32 exec_lo, exec_lo, s41
	s_delay_alu instid0(SALU_CYCLE_1)
	s_or_not1_b32 s39, s39, exec_lo
	s_or_not1_b32 s40, s40, exec_lo
.LBB11_44:                              ;   in Loop: Header=BB11_51 Depth=3
	s_or_b32 exec_lo, exec_lo, s38
	s_delay_alu instid0(SALU_CYCLE_1)
	s_and_b32 s39, s39, exec_lo
	s_or_not1_b32 s38, s40, exec_lo
.LBB11_45:                              ;   in Loop: Header=BB11_51 Depth=3
	s_or_b32 exec_lo, exec_lo, s37
	s_delay_alu instid0(SALU_CYCLE_1)
	s_or_not1_b32 s37, s39, exec_lo
	s_or_not1_b32 s38, s38, exec_lo
.LBB11_46:                              ;   in Loop: Header=BB11_51 Depth=3
	s_or_b32 exec_lo, exec_lo, s36
	s_delay_alu instid0(SALU_CYCLE_1)
	s_and_b32 s37, s37, exec_lo
	s_or_not1_b32 s36, s38, exec_lo
.LBB11_47:                              ;   in Loop: Header=BB11_51 Depth=3
	s_or_b32 exec_lo, exec_lo, s35
	s_delay_alu instid0(SALU_CYCLE_1)
	s_or_not1_b32 s35, s37, exec_lo
	s_or_not1_b32 s36, s36, exec_lo
.LBB11_48:                              ;   in Loop: Header=BB11_51 Depth=3
	s_or_b32 exec_lo, exec_lo, s34
	s_delay_alu instid0(SALU_CYCLE_1)
	s_and_b32 s35, s35, exec_lo
	s_or_not1_b32 s34, s36, exec_lo
.LBB11_49:                              ;   in Loop: Header=BB11_51 Depth=3
	s_or_b32 exec_lo, exec_lo, s33
	s_delay_alu instid0(SALU_CYCLE_1)
	s_and_not1_b32 s27, s27, exec_lo
	s_and_b32 s33, s35, exec_lo
	s_and_not1_b32 s26, s26, exec_lo
	s_and_b32 s34, s34, exec_lo
	s_or_b32 s27, s27, s33
	s_or_b32 s26, s26, s34
.LBB11_50:                              ;   in Loop: Header=BB11_51 Depth=3
	s_or_b32 exec_lo, exec_lo, s31
	s_delay_alu instid0(SALU_CYCLE_1)
	s_and_b32 s31, exec_lo, s26
	s_wait_alu 0xfffe
	s_or_b32 s24, s31, s24
	s_and_not1_b32 s25, s25, exec_lo
	s_and_b32 s31, s27, exec_lo
	s_wait_alu 0xfffe
	s_or_b32 s25, s25, s31
	s_and_not1_b32 exec_lo, exec_lo, s24
	s_cbranch_execz .LBB11_60
.LBB11_51:                              ;   Parent Loop BB11_36 Depth=1
                                        ;     Parent Loop BB11_42 Depth=2
                                        ; =>    This Inner Loop Header: Depth=3
	s_delay_alu instid0(VALU_DEP_1) | instskip(SKIP_3) | instid1(VALU_DEP_1)
	v_and_b32_e32 v18, 0x3ff, v19
	s_or_b32 s27, s27, exec_lo
	s_or_b32 s26, s26, exec_lo
	s_mov_b32 s31, exec_lo
	v_lshl_add_u32 v20, v18, 2, v14
	ds_load_b32 v20, v20
	s_wait_dscnt 0x0
	v_cmpx_ne_u32_e32 -1, v20
	s_cbranch_execz .LBB11_50
; %bb.52:                               ;   in Loop: Header=BB11_51 Depth=3
	s_mov_b32 s34, -1
	s_mov_b32 s35, 0
	s_mov_b32 s33, exec_lo
	v_cmpx_ne_u32_e64 v20, v12
	s_cbranch_execz .LBB11_49
; %bb.53:                               ;   in Loop: Header=BB11_51 Depth=3
	v_add_nc_u32_e32 v18, 1, v19
	s_mov_b32 s36, -1
	s_mov_b32 s35, -1
	s_mov_b32 s34, exec_lo
	s_delay_alu instid0(VALU_DEP_1) | instskip(NEXT) | instid1(VALU_DEP_1)
	v_and_b32_e32 v18, 0x3ff, v18
	v_lshl_add_u32 v20, v18, 2, v14
	ds_load_b32 v20, v20
	s_wait_dscnt 0x0
	v_cmpx_ne_u32_e32 -1, v20
	s_cbranch_execz .LBB11_48
; %bb.54:                               ;   in Loop: Header=BB11_51 Depth=3
	s_mov_b32 s37, 0
	s_mov_b32 s35, exec_lo
	v_cmpx_ne_u32_e64 v20, v12
	s_cbranch_execz .LBB11_47
; %bb.55:                               ;   in Loop: Header=BB11_51 Depth=3
	v_add_nc_u32_e32 v18, 2, v19
	s_mov_b32 s38, -1
	s_mov_b32 s37, -1
	s_mov_b32 s36, exec_lo
	s_delay_alu instid0(VALU_DEP_1) | instskip(NEXT) | instid1(VALU_DEP_1)
	v_and_b32_e32 v18, 0x3ff, v18
	v_lshl_add_u32 v20, v18, 2, v14
	ds_load_b32 v20, v20
	s_wait_dscnt 0x0
	v_cmpx_ne_u32_e32 -1, v20
	s_cbranch_execz .LBB11_46
; %bb.56:                               ;   in Loop: Header=BB11_51 Depth=3
	s_mov_b32 s39, 0
	s_mov_b32 s37, exec_lo
	v_cmpx_ne_u32_e64 v20, v12
	s_cbranch_execz .LBB11_45
; %bb.57:                               ;   in Loop: Header=BB11_51 Depth=3
	v_add_nc_u32_e32 v18, 3, v19
	s_mov_b32 s40, -1
	s_mov_b32 s39, -1
	s_mov_b32 s38, exec_lo
	s_delay_alu instid0(VALU_DEP_1) | instskip(NEXT) | instid1(VALU_DEP_1)
	v_and_b32_e32 v18, 0x3ff, v18
	v_lshl_add_u32 v19, v18, 2, v14
	ds_load_b32 v20, v19
                                        ; implicit-def: $vgpr19
	s_wait_dscnt 0x0
	v_cmpx_ne_u32_e32 -1, v20
	s_cbranch_execz .LBB11_44
; %bb.58:                               ;   in Loop: Header=BB11_51 Depth=3
	s_mov_b32 s39, 0
	s_mov_b32 s41, exec_lo
                                        ; implicit-def: $vgpr19
	v_cmpx_ne_u32_e64 v20, v12
	s_cbranch_execz .LBB11_43
; %bb.59:                               ;   in Loop: Header=BB11_51 Depth=3
	v_add_nc_u32_e32 v17, -4, v17
	v_add_nc_u32_e32 v19, 1, v18
	s_mov_b32 s39, exec_lo
	s_delay_alu instid0(VALU_DEP_2)
	v_cmp_eq_u32_e32 vcc_lo, 0, v17
	s_or_not1_b32 s40, vcc_lo, exec_lo
	s_branch .LBB11_43
.LBB11_60:                              ;   in Loop: Header=BB11_42 Depth=2
	s_or_b32 exec_lo, exec_lo, s24
	s_wait_alu 0xfffe
	s_xor_b32 s24, s25, -1
	s_wait_alu 0xfffe
	s_and_saveexec_b32 s25, s24
	s_wait_alu 0xfffe
	s_xor_b32 s24, exec_lo, s25
	s_cbranch_execz .LBB11_41
; %bb.61:                               ;   in Loop: Header=BB11_42 Depth=2
	v_lshl_add_u32 v12, v18, 2, v0
	v_add_co_u32 v9, vcc_lo, s8, v9
	s_wait_alu 0xfffd
	v_add_co_ci_u32_e64 v10, null, s9, v10, vcc_lo
	ds_load_b32 v17, v12
	s_wait_dscnt 0x0
	v_ashrrev_i32_e32 v18, 31, v17
	s_delay_alu instid0(VALU_DEP_1) | instskip(NEXT) | instid1(VALU_DEP_1)
	v_lshlrev_b64_e32 v[17:18], 2, v[17:18]
	v_add_co_u32 v17, vcc_lo, s8, v17
	s_wait_alu 0xfffd
	s_delay_alu instid0(VALU_DEP_2)
	v_add_co_ci_u32_e64 v18, null, s9, v18, vcc_lo
	s_clause 0x1
	global_load_b32 v9, v[9:10], off
	global_load_b32 v10, v[17:18], off
	s_wait_loadcnt 0x0
	v_fma_f32 v9, -v11, v9, v10
	global_store_b32 v[17:18], v9, off
	s_branch .LBB11_41
.LBB11_62:
	s_wait_alu 0xfffe
	s_or_b32 exec_lo, exec_lo, s2
	s_mov_b32 s5, -1
	s_mov_b32 s4, exec_lo
	s_wait_loadcnt 0x0
	s_wait_storecnt 0x0
	global_inv scope:SCOPE_SE
	v_cmpx_lt_i32_e32 -1, v6
	s_cbranch_execz .LBB11_78
; %bb.63:
	v_mov_b32_e32 v7, 0
	v_cmp_eq_u32_e64 s2, 0, v13
	s_delay_alu instid0(VALU_DEP_2) | instskip(NEXT) | instid1(VALU_DEP_1)
	v_lshlrev_b64_e32 v[6:7], 2, v[6:7]
	v_add_co_u32 v8, vcc_lo, s8, v6
	s_wait_alu 0xfffd
	s_delay_alu instid0(VALU_DEP_2)
	v_add_co_ci_u32_e64 v9, null, s9, v7, vcc_lo
	global_load_b32 v0, v[8:9], off
	s_wait_loadcnt 0x0
	v_cmp_gt_f32_e32 vcc_lo, 0, v0
	s_wait_alu 0xfffd
	v_cndmask_b32_e64 v6, v0, -v0, vcc_lo
	s_and_not1_b32 vcc_lo, exec_lo, s29
	s_delay_alu instid0(VALU_DEP_1)
	v_cvt_f64_f32_e32 v[6:7], v6
	s_wait_alu 0xfffe
	s_cbranch_vccnz .LBB11_67
; %bb.64:
	v_cvt_f64_f32_e32 v[10:11], s30
	s_cmp_eq_u64 s[20:21], 8
	s_cselect_b32 vcc_lo, -1, 0
	s_wait_alu 0xfffe
	s_delay_alu instid0(VALU_DEP_1) | instskip(NEXT) | instid1(VALU_DEP_1)
	v_dual_cndmask_b32 v4, v11, v4 :: v_dual_cndmask_b32 v3, v10, v3
	v_cmp_ge_f64_e32 vcc_lo, v[3:4], v[6:7]
	s_and_b32 s6, s2, vcc_lo
	s_wait_alu 0xfffe
	s_and_saveexec_b32 s5, s6
	s_cbranch_execz .LBB11_66
; %bb.65:
	v_mov_b32_e32 v3, s3
	global_store_b32 v[8:9], v3, off
	s_wait_storecnt 0x0
	global_inv scope:SCOPE_DEV
.LBB11_66:
	s_wait_alu 0xfffe
	s_or_b32 exec_lo, exec_lo, s5
	s_mov_b32 s5, 0
.LBB11_67:
	s_wait_alu 0xfffe
	s_and_not1_b32 vcc_lo, exec_lo, s5
	s_wait_alu 0xfffe
	s_cbranch_vccnz .LBB11_78
; %bb.68:
	s_load_b64 s[0:1], s[0:1], 0x48
	v_add_nc_u32_e32 v3, s28, v5
	s_wait_kmcnt 0x0
	s_delay_alu instid0(VALU_DEP_2)
	v_cmp_ge_f64_e32 vcc_lo, s[0:1], v[6:7]
	s_and_b32 s1, s2, vcc_lo
	s_wait_alu 0xfffe
	s_and_saveexec_b32 s0, s1
	s_cbranch_execz .LBB11_73
; %bb.69:
	s_mov_b32 s3, exec_lo
	s_brev_b32 s1, -2
.LBB11_70:                              ; =>This Inner Loop Header: Depth=1
	s_wait_alu 0xfffe
	s_ctz_i32_b32 s5, s3
	s_wait_alu 0xfffe
	v_readlane_b32 s6, v3, s5
	s_lshl_b32 s5, 1, s5
	s_wait_alu 0xfffe
	s_and_not1_b32 s3, s3, s5
	s_min_i32 s1, s1, s6
	s_wait_alu 0xfffe
	s_cmp_lg_u32 s3, 0
	s_cbranch_scc1 .LBB11_70
; %bb.71:
	v_mbcnt_lo_u32_b32 v4, exec_lo, 0
	s_mov_b32 s3, exec_lo
	s_delay_alu instid0(VALU_DEP_1)
	v_cmpx_eq_u32_e32 0, v4
	s_wait_alu 0xfffe
	s_xor_b32 s3, exec_lo, s3
	s_cbranch_execz .LBB11_73
; %bb.72:
	v_dual_mov_b32 v4, 0 :: v_dual_mov_b32 v5, s1
	global_atomic_min_i32 v4, v5, s[18:19] scope:SCOPE_DEV
.LBB11_73:
	s_wait_alu 0xfffe
	s_or_b32 exec_lo, exec_lo, s0
	v_cmp_eq_f32_e32 vcc_lo, 0, v0
	s_and_b32 s0, s2, vcc_lo
	s_wait_alu 0xfffe
	s_and_b32 exec_lo, exec_lo, s0
	s_cbranch_execz .LBB11_78
; %bb.74:
	s_mov_b32 s1, exec_lo
	s_brev_b32 s0, -2
.LBB11_75:                              ; =>This Inner Loop Header: Depth=1
	s_wait_alu 0xfffe
	s_ctz_i32_b32 s2, s1
	s_wait_alu 0xfffe
	v_readlane_b32 s3, v3, s2
	s_lshl_b32 s2, 1, s2
	s_wait_alu 0xfffe
	s_and_not1_b32 s1, s1, s2
	s_min_i32 s0, s0, s3
	s_wait_alu 0xfffe
	s_cmp_lg_u32 s1, 0
	s_cbranch_scc1 .LBB11_75
; %bb.76:
	v_mbcnt_lo_u32_b32 v0, exec_lo, 0
	s_mov_b32 s1, exec_lo
	s_delay_alu instid0(VALU_DEP_1)
	v_cmpx_eq_u32_e32 0, v0
	s_wait_alu 0xfffe
	s_xor_b32 s1, exec_lo, s1
	s_cbranch_execz .LBB11_78
; %bb.77:
	v_dual_mov_b32 v0, 0 :: v_dual_mov_b32 v3, s0
	global_atomic_min_i32 v0, v3, s[16:17] scope:SCOPE_DEV
.LBB11_78:
	s_wait_alu 0xfffe
	s_or_b32 exec_lo, exec_lo, s4
	v_cmp_eq_u32_e32 vcc_lo, 0, v13
	s_wait_loadcnt 0x0
	s_wait_storecnt 0x0
	global_inv scope:SCOPE_DEV
	s_and_b32 exec_lo, exec_lo, vcc_lo
	s_cbranch_execz .LBB11_80
; %bb.79:
	v_add_co_u32 v0, vcc_lo, s12, v1
	s_wait_alu 0xfffd
	v_add_co_ci_u32_e64 v1, null, s13, v2, vcc_lo
	v_mov_b32_e32 v2, 1
	s_wait_loadcnt 0x0
	global_store_b32 v[0:1], v2, off scope:SCOPE_DEV
.LBB11_80:
	s_endpgm
	.section	.rodata,"a",@progbits
	.p2align	6, 0x0
	.amdhsa_kernel _ZN9rocsparseL12csrilu0_hashILj256ELj64ELj16EfEEviPKiS2_PT2_S2_PiS2_S5_S5_d21rocsparse_index_base_imNS_24const_host_device_scalarIfEENS7_IdEENS7_IS3_EEb
		.amdhsa_group_segment_fixed_size 32768
		.amdhsa_private_segment_fixed_size 0
		.amdhsa_kernarg_size 124
		.amdhsa_user_sgpr_count 2
		.amdhsa_user_sgpr_dispatch_ptr 0
		.amdhsa_user_sgpr_queue_ptr 0
		.amdhsa_user_sgpr_kernarg_segment_ptr 1
		.amdhsa_user_sgpr_dispatch_id 0
		.amdhsa_user_sgpr_private_segment_size 0
		.amdhsa_wavefront_size32 1
		.amdhsa_uses_dynamic_stack 0
		.amdhsa_enable_private_segment 0
		.amdhsa_system_sgpr_workgroup_id_x 1
		.amdhsa_system_sgpr_workgroup_id_y 0
		.amdhsa_system_sgpr_workgroup_id_z 0
		.amdhsa_system_sgpr_workgroup_info 0
		.amdhsa_system_vgpr_workitem_id 0
		.amdhsa_next_free_vgpr 169
		.amdhsa_next_free_sgpr 42
		.amdhsa_reserve_vcc 1
		.amdhsa_float_round_mode_32 0
		.amdhsa_float_round_mode_16_64 0
		.amdhsa_float_denorm_mode_32 3
		.amdhsa_float_denorm_mode_16_64 3
		.amdhsa_fp16_overflow 0
		.amdhsa_workgroup_processor_mode 1
		.amdhsa_memory_ordered 1
		.amdhsa_forward_progress 1
		.amdhsa_inst_pref_size 26
		.amdhsa_round_robin_scheduling 0
		.amdhsa_exception_fp_ieee_invalid_op 0
		.amdhsa_exception_fp_denorm_src 0
		.amdhsa_exception_fp_ieee_div_zero 0
		.amdhsa_exception_fp_ieee_overflow 0
		.amdhsa_exception_fp_ieee_underflow 0
		.amdhsa_exception_fp_ieee_inexact 0
		.amdhsa_exception_int_div_zero 0
	.end_amdhsa_kernel
	.section	.text._ZN9rocsparseL12csrilu0_hashILj256ELj64ELj16EfEEviPKiS2_PT2_S2_PiS2_S5_S5_d21rocsparse_index_base_imNS_24const_host_device_scalarIfEENS7_IdEENS7_IS3_EEb,"axG",@progbits,_ZN9rocsparseL12csrilu0_hashILj256ELj64ELj16EfEEviPKiS2_PT2_S2_PiS2_S5_S5_d21rocsparse_index_base_imNS_24const_host_device_scalarIfEENS7_IdEENS7_IS3_EEb,comdat
.Lfunc_end11:
	.size	_ZN9rocsparseL12csrilu0_hashILj256ELj64ELj16EfEEviPKiS2_PT2_S2_PiS2_S5_S5_d21rocsparse_index_base_imNS_24const_host_device_scalarIfEENS7_IdEENS7_IS3_EEb, .Lfunc_end11-_ZN9rocsparseL12csrilu0_hashILj256ELj64ELj16EfEEviPKiS2_PT2_S2_PiS2_S5_S5_d21rocsparse_index_base_imNS_24const_host_device_scalarIfEENS7_IdEENS7_IS3_EEb
                                        ; -- End function
	.set _ZN9rocsparseL12csrilu0_hashILj256ELj64ELj16EfEEviPKiS2_PT2_S2_PiS2_S5_S5_d21rocsparse_index_base_imNS_24const_host_device_scalarIfEENS7_IdEENS7_IS3_EEb.num_vgpr, 22
	.set _ZN9rocsparseL12csrilu0_hashILj256ELj64ELj16EfEEviPKiS2_PT2_S2_PiS2_S5_S5_d21rocsparse_index_base_imNS_24const_host_device_scalarIfEENS7_IdEENS7_IS3_EEb.num_agpr, 0
	.set _ZN9rocsparseL12csrilu0_hashILj256ELj64ELj16EfEEviPKiS2_PT2_S2_PiS2_S5_S5_d21rocsparse_index_base_imNS_24const_host_device_scalarIfEENS7_IdEENS7_IS3_EEb.numbered_sgpr, 42
	.set _ZN9rocsparseL12csrilu0_hashILj256ELj64ELj16EfEEviPKiS2_PT2_S2_PiS2_S5_S5_d21rocsparse_index_base_imNS_24const_host_device_scalarIfEENS7_IdEENS7_IS3_EEb.num_named_barrier, 0
	.set _ZN9rocsparseL12csrilu0_hashILj256ELj64ELj16EfEEviPKiS2_PT2_S2_PiS2_S5_S5_d21rocsparse_index_base_imNS_24const_host_device_scalarIfEENS7_IdEENS7_IS3_EEb.private_seg_size, 0
	.set _ZN9rocsparseL12csrilu0_hashILj256ELj64ELj16EfEEviPKiS2_PT2_S2_PiS2_S5_S5_d21rocsparse_index_base_imNS_24const_host_device_scalarIfEENS7_IdEENS7_IS3_EEb.uses_vcc, 1
	.set _ZN9rocsparseL12csrilu0_hashILj256ELj64ELj16EfEEviPKiS2_PT2_S2_PiS2_S5_S5_d21rocsparse_index_base_imNS_24const_host_device_scalarIfEENS7_IdEENS7_IS3_EEb.uses_flat_scratch, 0
	.set _ZN9rocsparseL12csrilu0_hashILj256ELj64ELj16EfEEviPKiS2_PT2_S2_PiS2_S5_S5_d21rocsparse_index_base_imNS_24const_host_device_scalarIfEENS7_IdEENS7_IS3_EEb.has_dyn_sized_stack, 0
	.set _ZN9rocsparseL12csrilu0_hashILj256ELj64ELj16EfEEviPKiS2_PT2_S2_PiS2_S5_S5_d21rocsparse_index_base_imNS_24const_host_device_scalarIfEENS7_IdEENS7_IS3_EEb.has_recursion, 0
	.set _ZN9rocsparseL12csrilu0_hashILj256ELj64ELj16EfEEviPKiS2_PT2_S2_PiS2_S5_S5_d21rocsparse_index_base_imNS_24const_host_device_scalarIfEENS7_IdEENS7_IS3_EEb.has_indirect_call, 0
	.section	.AMDGPU.csdata,"",@progbits
; Kernel info:
; codeLenInByte = 3204
; TotalNumSgprs: 44
; NumVgprs: 22
; ScratchSize: 0
; MemoryBound: 0
; FloatMode: 240
; IeeeMode: 1
; LDSByteSize: 32768 bytes/workgroup (compile time only)
; SGPRBlocks: 0
; VGPRBlocks: 21
; NumSGPRsForWavesPerEU: 44
; NumVGPRsForWavesPerEU: 169
; Occupancy: 8
; WaveLimiterHint : 1
; COMPUTE_PGM_RSRC2:SCRATCH_EN: 0
; COMPUTE_PGM_RSRC2:USER_SGPR: 2
; COMPUTE_PGM_RSRC2:TRAP_HANDLER: 0
; COMPUTE_PGM_RSRC2:TGID_X_EN: 1
; COMPUTE_PGM_RSRC2:TGID_Y_EN: 0
; COMPUTE_PGM_RSRC2:TGID_Z_EN: 0
; COMPUTE_PGM_RSRC2:TIDIG_COMP_CNT: 0
	.section	.text._ZN9rocsparseL17csrilu0_binsearchILj256ELj64ELb0EfEEviPKiS2_PT2_S2_PiS2_S5_S5_d21rocsparse_index_base_imNS_24const_host_device_scalarIfEENS7_IdEENS7_IS3_EEb,"axG",@progbits,_ZN9rocsparseL17csrilu0_binsearchILj256ELj64ELb0EfEEviPKiS2_PT2_S2_PiS2_S5_S5_d21rocsparse_index_base_imNS_24const_host_device_scalarIfEENS7_IdEENS7_IS3_EEb,comdat
	.globl	_ZN9rocsparseL17csrilu0_binsearchILj256ELj64ELb0EfEEviPKiS2_PT2_S2_PiS2_S5_S5_d21rocsparse_index_base_imNS_24const_host_device_scalarIfEENS7_IdEENS7_IS3_EEb ; -- Begin function _ZN9rocsparseL17csrilu0_binsearchILj256ELj64ELb0EfEEviPKiS2_PT2_S2_PiS2_S5_S5_d21rocsparse_index_base_imNS_24const_host_device_scalarIfEENS7_IdEENS7_IS3_EEb
	.p2align	8
	.type	_ZN9rocsparseL17csrilu0_binsearchILj256ELj64ELb0EfEEviPKiS2_PT2_S2_PiS2_S5_S5_d21rocsparse_index_base_imNS_24const_host_device_scalarIfEENS7_IdEENS7_IS3_EEb,@function
_ZN9rocsparseL17csrilu0_binsearchILj256ELj64ELb0EfEEviPKiS2_PT2_S2_PiS2_S5_S5_d21rocsparse_index_base_imNS_24const_host_device_scalarIfEENS7_IdEENS7_IS3_EEb: ; @_ZN9rocsparseL17csrilu0_binsearchILj256ELj64ELb0EfEEviPKiS2_PT2_S2_PiS2_S5_S5_d21rocsparse_index_base_imNS_24const_host_device_scalarIfEENS7_IdEENS7_IS3_EEb
; %bb.0:
	s_clause 0x2
	s_load_b32 s2, s[0:1], 0x78
	s_load_b64 s[28:29], s[0:1], 0x50
	s_load_b256 s[20:27], s[0:1], 0x58
	s_wait_kmcnt 0x0
	s_bitcmp1_b32 s2, 0
	s_cselect_b32 s2, -1, 0
	s_cmp_eq_u32 s29, 0
	s_cselect_b32 s4, -1, 0
	s_cmp_lg_u32 s29, 0
	s_cselect_b32 s29, -1, 0
	s_or_b32 s6, s4, s2
	s_delay_alu instid0(SALU_CYCLE_1)
	s_xor_b32 s5, s6, -1
	s_and_b32 s2, s4, exec_lo
	s_cselect_b32 s3, 0, s25
	s_cselect_b32 s2, 0, s24
	;; [unrolled: 1-line block ×3, first 2 shown]
	s_and_b32 vcc_lo, exec_lo, s6
	s_cbranch_vccnz .LBB12_2
; %bb.1:
	s_load_b32 s30, s[22:23], 0x0
	s_mov_b64 s[2:3], s[24:25]
.LBB12_2:
	v_cndmask_b32_e64 v1, 0, 1, s5
	v_dual_mov_b32 v4, s3 :: v_dual_mov_b32 v3, s2
	s_and_not1_b32 vcc_lo, exec_lo, s5
	s_cbranch_vccnz .LBB12_4
; %bb.3:
	v_dual_mov_b32 v2, s24 :: v_dual_mov_b32 v3, s25
	flat_load_b64 v[3:4], v[2:3]
.LBB12_4:
	s_delay_alu instid0(VALU_DEP_2)
	v_cmp_ne_u32_e32 vcc_lo, 1, v1
	s_and_b32 s2, s4, exec_lo
	s_cselect_b32 s3, 0, s26
	s_cbranch_vccnz .LBB12_6
; %bb.5:
	s_load_b32 s3, s[26:27], 0x0
.LBB12_6:
	s_load_b32 s2, s[0:1], 0x0
	v_lshrrev_b32_e32 v1, 6, v0
	s_lshl_b32 s4, ttmp9, 2
	s_wait_alu 0xfffe
	s_delay_alu instid0(VALU_DEP_1) | instskip(SKIP_1) | instid1(VALU_DEP_1)
	v_and_or_b32 v1, 0x3fffffc, s4, v1
	s_wait_kmcnt 0x0
	v_cmp_gt_i32_e32 vcc_lo, s2, v1
	s_and_saveexec_b32 s2, vcc_lo
	s_cbranch_execz .LBB12_42
; %bb.7:
	s_load_b512 s[4:19], s[0:1], 0x8
	v_lshlrev_b32_e32 v1, 2, v1
	v_and_b32_e32 v0, 63, v0
	s_mov_b32 s2, exec_lo
	s_wait_kmcnt 0x0
	global_load_b32 v5, v1, s[14:15]
	s_wait_loadcnt 0x0
	v_ashrrev_i32_e32 v6, 31, v5
	s_delay_alu instid0(VALU_DEP_1) | instskip(NEXT) | instid1(VALU_DEP_1)
	v_lshlrev_b64_e32 v[1:2], 2, v[5:6]
	v_add_co_u32 v8, vcc_lo, s4, v1
	s_delay_alu instid0(VALU_DEP_1)
	v_add_co_ci_u32_e64 v9, null, s5, v2, vcc_lo
	v_add_co_u32 v6, vcc_lo, s10, v1
	s_wait_alu 0xfffd
	v_add_co_ci_u32_e64 v7, null, s11, v2, vcc_lo
	global_load_b32 v10, v[8:9], off
	global_load_b32 v6, v[6:7], off
	s_wait_loadcnt 0x1
	v_subrev_nc_u32_e32 v7, s28, v10
	s_wait_loadcnt 0x0
	s_delay_alu instid0(VALU_DEP_1)
	v_cmpx_lt_i32_e64 v7, v6
	s_cbranch_execz .LBB12_24
; %bb.8:
	global_load_b32 v8, v[8:9], off offset:4
	v_add_nc_u32_e32 v16, 1, v0
	s_mov_b32 s14, 0
	s_wait_loadcnt 0x0
	v_xad_u32 v17, s28, -1, v8
	s_branch .LBB12_11
.LBB12_9:                               ;   in Loop: Header=BB12_11 Depth=1
	s_or_b32 exec_lo, exec_lo, s22
	v_cmp_ge_i32_e32 vcc_lo, v7, v6
	s_or_not1_b32 s22, vcc_lo, exec_lo
.LBB12_10:                              ;   in Loop: Header=BB12_11 Depth=1
	s_or_b32 exec_lo, exec_lo, s15
	s_delay_alu instid0(SALU_CYCLE_1) | instskip(NEXT) | instid1(SALU_CYCLE_1)
	s_and_b32 s15, exec_lo, s22
	s_or_b32 s14, s15, s14
	s_delay_alu instid0(SALU_CYCLE_1)
	s_and_not1_b32 exec_lo, exec_lo, s14
	s_cbranch_execz .LBB12_24
.LBB12_11:                              ; =>This Loop Header: Depth=1
                                        ;     Child Loop BB12_13 Depth 2
                                        ;     Child Loop BB12_18 Depth 2
                                        ;       Child Loop BB12_20 Depth 3
	v_ashrrev_i32_e32 v8, 31, v7
	s_mov_b32 s15, exec_lo
	s_delay_alu instid0(VALU_DEP_1) | instskip(NEXT) | instid1(VALU_DEP_1)
	v_lshlrev_b64_e32 v[9:10], 2, v[7:8]
	v_add_co_u32 v11, vcc_lo, s6, v9
	s_wait_alu 0xfffd
	s_delay_alu instid0(VALU_DEP_2)
	v_add_co_ci_u32_e64 v12, null, s7, v10, vcc_lo
	v_add_co_u32 v9, vcc_lo, s8, v9
	s_wait_alu 0xfffd
	v_add_co_ci_u32_e64 v10, null, s9, v10, vcc_lo
	global_load_b32 v8, v[11:12], off
	s_wait_loadcnt 0x0
	v_subrev_nc_u32_e32 v11, s28, v8
	s_delay_alu instid0(VALU_DEP_1) | instskip(NEXT) | instid1(VALU_DEP_1)
	v_ashrrev_i32_e32 v12, 31, v11
	v_lshlrev_b64_e32 v[11:12], 2, v[11:12]
	s_delay_alu instid0(VALU_DEP_1) | instskip(SKIP_1) | instid1(VALU_DEP_2)
	v_add_co_u32 v14, vcc_lo, s4, v11
	s_wait_alu 0xfffd
	v_add_co_ci_u32_e64 v15, null, s5, v12, vcc_lo
	v_add_co_u32 v18, vcc_lo, s10, v11
	s_wait_alu 0xfffd
	v_add_co_ci_u32_e64 v19, null, s11, v12, vcc_lo
	;; [unrolled: 3-line block ×3, first 2 shown]
	global_load_b32 v13, v[9:10], off
	global_load_b32 v14, v[14:15], off offset:4
	global_load_b32 v8, v[18:19], off
	global_load_b32 v15, v[11:12], off scope:SCOPE_DEV
	s_wait_loadcnt 0x0
	v_cmpx_eq_u32_e32 0, v15
	s_cbranch_execz .LBB12_14
; %bb.12:                               ;   in Loop: Header=BB12_11 Depth=1
	s_mov_b32 s22, 0
.LBB12_13:                              ;   Parent Loop BB12_11 Depth=1
                                        ; =>  This Inner Loop Header: Depth=2
	global_load_b32 v15, v[11:12], off scope:SCOPE_DEV
	s_wait_loadcnt 0x0
	v_cmp_ne_u32_e32 vcc_lo, 0, v15
	s_or_b32 s22, vcc_lo, s22
	s_delay_alu instid0(SALU_CYCLE_1)
	s_and_not1_b32 exec_lo, exec_lo, s22
	s_cbranch_execnz .LBB12_13
.LBB12_14:                              ;   in Loop: Header=BB12_11 Depth=1
	s_or_b32 exec_lo, exec_lo, s15
	v_subrev_nc_u32_e32 v18, s28, v14
	v_cmp_eq_u32_e32 vcc_lo, -1, v8
	s_wait_dscnt 0x0
	global_inv scope:SCOPE_DEV
	s_mov_b32 s22, -1
	s_mov_b32 s15, exec_lo
	v_add_nc_u32_e32 v11, -1, v18
	s_wait_alu 0xfffd
	s_delay_alu instid0(VALU_DEP_1) | instskip(NEXT) | instid1(VALU_DEP_1)
	v_cndmask_b32_e32 v11, v8, v11, vcc_lo
	v_ashrrev_i32_e32 v12, 31, v11
	s_delay_alu instid0(VALU_DEP_1) | instskip(NEXT) | instid1(VALU_DEP_1)
	v_lshlrev_b64_e32 v[14:15], 2, v[11:12]
	v_add_co_u32 v14, vcc_lo, s8, v14
	s_wait_alu 0xfffd
	s_delay_alu instid0(VALU_DEP_2)
	v_add_co_ci_u32_e64 v15, null, s9, v15, vcc_lo
	global_load_b32 v12, v[14:15], off
	s_wait_loadcnt 0x0
	v_cmpx_neq_f32_e32 0, v12
	s_xor_b32 s15, exec_lo, s15
	s_cbranch_execz .LBB12_10
; %bb.15:                               ;   in Loop: Header=BB12_11 Depth=1
	v_div_scale_f32 v8, null, v12, v12, v13
	v_div_scale_f32 v19, vcc_lo, v13, v12, v13
	s_mov_b32 s22, exec_lo
	v_rcp_f32_e32 v14, v8
	v_add_nc_u32_e32 v7, 1, v7
	s_delay_alu instid0(TRANS32_DEP_1) | instskip(NEXT) | instid1(VALU_DEP_1)
	v_fma_f32 v15, -v8, v14, 1.0
	v_fmac_f32_e32 v14, v15, v14
	s_delay_alu instid0(VALU_DEP_1) | instskip(NEXT) | instid1(VALU_DEP_1)
	v_mul_f32_e32 v15, v19, v14
	v_fma_f32 v20, -v8, v15, v19
	s_delay_alu instid0(VALU_DEP_1) | instskip(NEXT) | instid1(VALU_DEP_1)
	v_fmac_f32_e32 v15, v20, v14
	v_fma_f32 v8, -v8, v15, v19
	s_wait_alu 0xfffd
	s_delay_alu instid0(VALU_DEP_1) | instskip(SKIP_1) | instid1(VALU_DEP_2)
	v_div_fmas_f32 v14, v8, v14, v15
	v_add_nc_u32_e32 v8, v16, v11
	v_div_fixup_f32 v19, v14, v12, v13
	global_store_b32 v[9:10], v19, off
	v_cmpx_lt_i32_e64 v8, v18
	s_cbranch_execz .LBB12_9
; %bb.16:                               ;   in Loop: Header=BB12_11 Depth=1
	v_mov_b32_e32 v10, v7
	s_mov_b32 s23, 0
	s_branch .LBB12_18
.LBB12_17:                              ;   in Loop: Header=BB12_18 Depth=2
	s_wait_alu 0xfffe
	s_or_b32 exec_lo, exec_lo, s24
	v_add_nc_u32_e32 v8, 64, v8
	s_delay_alu instid0(VALU_DEP_1) | instskip(SKIP_1) | instid1(SALU_CYCLE_1)
	v_cmp_ge_i32_e32 vcc_lo, v8, v18
	s_or_b32 s23, vcc_lo, s23
	s_and_not1_b32 exec_lo, exec_lo, s23
	s_cbranch_execz .LBB12_9
.LBB12_18:                              ;   Parent Loop BB12_11 Depth=1
                                        ; =>  This Loop Header: Depth=2
                                        ;       Child Loop BB12_20 Depth 3
	s_delay_alu instid0(VALU_DEP_1) | instskip(SKIP_1) | instid1(VALU_DEP_1)
	v_add_nc_u32_e32 v9, v10, v17
	s_mov_b32 s24, exec_lo
	v_ashrrev_i32_e32 v14, 1, v9
	v_ashrrev_i32_e32 v9, 31, v8
	s_delay_alu instid0(VALU_DEP_2) | instskip(NEXT) | instid1(VALU_DEP_2)
	v_ashrrev_i32_e32 v15, 31, v14
	v_lshlrev_b64_e32 v[12:13], 2, v[8:9]
	s_delay_alu instid0(VALU_DEP_2) | instskip(NEXT) | instid1(VALU_DEP_2)
	v_lshlrev_b64_e32 v[20:21], 2, v[14:15]
	v_add_co_u32 v22, vcc_lo, s6, v12
	s_wait_alu 0xfffd
	s_delay_alu instid0(VALU_DEP_3) | instskip(NEXT) | instid1(VALU_DEP_3)
	v_add_co_ci_u32_e64 v23, null, s7, v13, vcc_lo
	v_add_co_u32 v20, vcc_lo, s6, v20
	s_wait_alu 0xfffd
	v_add_co_ci_u32_e64 v21, null, s7, v21, vcc_lo
	s_clause 0x1
	global_load_b32 v9, v[22:23], off
	global_load_b32 v11, v[20:21], off
	v_cmpx_lt_i32_e64 v10, v17
	s_cbranch_execz .LBB12_22
; %bb.19:                               ;   in Loop: Header=BB12_18 Depth=2
	v_mov_b32_e32 v20, v17
	s_mov_b32 s25, 0
.LBB12_20:                              ;   Parent Loop BB12_11 Depth=1
                                        ;     Parent Loop BB12_18 Depth=2
                                        ; =>    This Inner Loop Header: Depth=3
	s_wait_loadcnt 0x0
	v_cmp_lt_i32_e32 vcc_lo, v11, v9
	s_wait_alu 0xfffd
	v_dual_cndmask_b32 v20, v14, v20 :: v_dual_add_nc_u32 v15, 1, v14
	s_delay_alu instid0(VALU_DEP_1) | instskip(NEXT) | instid1(VALU_DEP_1)
	v_cndmask_b32_e32 v10, v10, v15, vcc_lo
	v_add_nc_u32_e32 v11, v20, v10
	s_delay_alu instid0(VALU_DEP_1) | instskip(NEXT) | instid1(VALU_DEP_1)
	v_ashrrev_i32_e32 v14, 1, v11
	v_ashrrev_i32_e32 v15, 31, v14
	s_delay_alu instid0(VALU_DEP_1) | instskip(NEXT) | instid1(VALU_DEP_1)
	v_lshlrev_b64_e32 v[21:22], 2, v[14:15]
	v_add_co_u32 v21, vcc_lo, s6, v21
	s_wait_alu 0xfffd
	s_delay_alu instid0(VALU_DEP_2)
	v_add_co_ci_u32_e64 v22, null, s7, v22, vcc_lo
	v_cmp_ge_i32_e32 vcc_lo, v10, v20
	global_load_b32 v11, v[21:22], off
	s_wait_alu 0xfffe
	s_or_b32 s25, vcc_lo, s25
	s_wait_alu 0xfffe
	s_and_not1_b32 exec_lo, exec_lo, s25
	s_cbranch_execnz .LBB12_20
; %bb.21:                               ;   in Loop: Header=BB12_18 Depth=2
	s_or_b32 exec_lo, exec_lo, s25
.LBB12_22:                              ;   in Loop: Header=BB12_18 Depth=2
	s_wait_alu 0xfffe
	s_or_b32 exec_lo, exec_lo, s24
	s_delay_alu instid0(SALU_CYCLE_1)
	s_mov_b32 s24, exec_lo
	s_wait_loadcnt 0x0
	v_cmpx_eq_u32_e64 v11, v9
	s_cbranch_execz .LBB12_17
; %bb.23:                               ;   in Loop: Header=BB12_18 Depth=2
	v_ashrrev_i32_e32 v11, 31, v10
	s_delay_alu instid0(VALU_DEP_1) | instskip(SKIP_3) | instid1(VALU_DEP_3)
	v_lshlrev_b64_e32 v[14:15], 2, v[10:11]
	v_add_co_u32 v11, vcc_lo, s8, v12
	s_wait_alu 0xfffd
	v_add_co_ci_u32_e64 v12, null, s9, v13, vcc_lo
	v_add_co_u32 v13, vcc_lo, s8, v14
	s_wait_alu 0xfffd
	v_add_co_ci_u32_e64 v14, null, s9, v15, vcc_lo
	s_clause 0x1
	global_load_b32 v9, v[11:12], off
	global_load_b32 v11, v[13:14], off
	s_wait_loadcnt 0x0
	v_fma_f32 v9, -v19, v9, v11
	global_store_b32 v[13:14], v9, off
	s_branch .LBB12_17
.LBB12_24:
	s_wait_alu 0xfffe
	s_or_b32 exec_lo, exec_lo, s2
	s_mov_b32 s5, -1
	s_mov_b32 s4, exec_lo
	s_wait_storecnt_dscnt 0x0
	global_inv scope:SCOPE_SE
	v_cmpx_lt_i32_e32 -1, v6
	s_cbranch_execz .LBB12_40
; %bb.25:
	v_mov_b32_e32 v7, 0
	v_cmp_eq_u32_e64 s2, 0, v0
	s_delay_alu instid0(VALU_DEP_2) | instskip(NEXT) | instid1(VALU_DEP_1)
	v_lshlrev_b64_e32 v[6:7], 2, v[6:7]
	v_add_co_u32 v8, vcc_lo, s8, v6
	s_wait_alu 0xfffd
	s_delay_alu instid0(VALU_DEP_2)
	v_add_co_ci_u32_e64 v9, null, s9, v7, vcc_lo
	global_load_b32 v10, v[8:9], off
	s_wait_loadcnt 0x0
	v_cmp_gt_f32_e32 vcc_lo, 0, v10
	s_wait_alu 0xfffd
	v_cndmask_b32_e64 v6, v10, -v10, vcc_lo
	s_and_not1_b32 vcc_lo, exec_lo, s29
	s_delay_alu instid0(VALU_DEP_1)
	v_cvt_f64_f32_e32 v[6:7], v6
	s_wait_alu 0xfffe
	s_cbranch_vccnz .LBB12_29
; %bb.26:
	v_cvt_f64_f32_e32 v[11:12], s30
	s_cmp_eq_u64 s[20:21], 8
	s_cselect_b32 vcc_lo, -1, 0
	s_wait_alu 0xfffe
	s_delay_alu instid0(VALU_DEP_1) | instskip(NEXT) | instid1(VALU_DEP_1)
	v_dual_cndmask_b32 v4, v12, v4 :: v_dual_cndmask_b32 v3, v11, v3
	v_cmp_ge_f64_e32 vcc_lo, v[3:4], v[6:7]
	s_and_b32 s6, s2, vcc_lo
	s_wait_alu 0xfffe
	s_and_saveexec_b32 s5, s6
	s_cbranch_execz .LBB12_28
; %bb.27:
	v_mov_b32_e32 v3, s3
	global_store_b32 v[8:9], v3, off
.LBB12_28:
	s_wait_alu 0xfffe
	s_or_b32 exec_lo, exec_lo, s5
	s_mov_b32 s5, 0
.LBB12_29:
	s_wait_alu 0xfffe
	s_and_not1_b32 vcc_lo, exec_lo, s5
	s_wait_alu 0xfffe
	s_cbranch_vccnz .LBB12_40
; %bb.30:
	s_load_b64 s[0:1], s[0:1], 0x48
	v_add_nc_u32_e32 v3, s28, v5
	s_wait_kmcnt 0x0
	s_delay_alu instid0(VALU_DEP_2)
	v_cmp_ge_f64_e32 vcc_lo, s[0:1], v[6:7]
	s_and_b32 s1, s2, vcc_lo
	s_wait_alu 0xfffe
	s_and_saveexec_b32 s0, s1
	s_cbranch_execz .LBB12_35
; %bb.31:
	s_mov_b32 s3, exec_lo
	s_brev_b32 s1, -2
.LBB12_32:                              ; =>This Inner Loop Header: Depth=1
	s_wait_alu 0xfffe
	s_ctz_i32_b32 s5, s3
	s_wait_alu 0xfffe
	v_readlane_b32 s6, v3, s5
	s_lshl_b32 s5, 1, s5
	s_wait_alu 0xfffe
	s_and_not1_b32 s3, s3, s5
	s_min_i32 s1, s1, s6
	s_wait_alu 0xfffe
	s_cmp_lg_u32 s3, 0
	s_cbranch_scc1 .LBB12_32
; %bb.33:
	v_mbcnt_lo_u32_b32 v4, exec_lo, 0
	s_mov_b32 s3, exec_lo
	s_delay_alu instid0(VALU_DEP_1)
	v_cmpx_eq_u32_e32 0, v4
	s_wait_alu 0xfffe
	s_xor_b32 s3, exec_lo, s3
	s_cbranch_execz .LBB12_35
; %bb.34:
	v_dual_mov_b32 v4, 0 :: v_dual_mov_b32 v5, s1
	global_atomic_min_i32 v4, v5, s[18:19] scope:SCOPE_DEV
.LBB12_35:
	s_wait_alu 0xfffe
	s_or_b32 exec_lo, exec_lo, s0
	v_cmp_eq_f32_e32 vcc_lo, 0, v10
	s_and_b32 s0, s2, vcc_lo
	s_wait_alu 0xfffe
	s_and_b32 exec_lo, exec_lo, s0
	s_cbranch_execz .LBB12_40
; %bb.36:
	s_mov_b32 s1, exec_lo
	s_brev_b32 s0, -2
.LBB12_37:                              ; =>This Inner Loop Header: Depth=1
	s_wait_alu 0xfffe
	s_ctz_i32_b32 s2, s1
	s_wait_alu 0xfffe
	v_readlane_b32 s3, v3, s2
	s_lshl_b32 s2, 1, s2
	s_wait_alu 0xfffe
	s_and_not1_b32 s1, s1, s2
	s_min_i32 s0, s0, s3
	s_wait_alu 0xfffe
	s_cmp_lg_u32 s1, 0
	s_cbranch_scc1 .LBB12_37
; %bb.38:
	v_mbcnt_lo_u32_b32 v3, exec_lo, 0
	s_mov_b32 s1, exec_lo
	s_delay_alu instid0(VALU_DEP_1)
	v_cmpx_eq_u32_e32 0, v3
	s_wait_alu 0xfffe
	s_xor_b32 s1, exec_lo, s1
	s_cbranch_execz .LBB12_40
; %bb.39:
	v_dual_mov_b32 v3, 0 :: v_dual_mov_b32 v4, s0
	global_atomic_min_i32 v3, v4, s[16:17] scope:SCOPE_DEV
.LBB12_40:
	s_wait_alu 0xfffe
	s_or_b32 exec_lo, exec_lo, s4
	v_cmp_eq_u32_e32 vcc_lo, 0, v0
	s_wait_loadcnt 0x0
	s_wait_storecnt 0x0
	global_inv scope:SCOPE_DEV
	s_and_b32 exec_lo, exec_lo, vcc_lo
	s_cbranch_execz .LBB12_42
; %bb.41:
	v_add_co_u32 v0, vcc_lo, s12, v1
	s_wait_alu 0xfffd
	v_add_co_ci_u32_e64 v1, null, s13, v2, vcc_lo
	v_mov_b32_e32 v2, 1
	s_wait_loadcnt 0x0
	global_store_b32 v[0:1], v2, off scope:SCOPE_DEV
.LBB12_42:
	s_endpgm
	.section	.rodata,"a",@progbits
	.p2align	6, 0x0
	.amdhsa_kernel _ZN9rocsparseL17csrilu0_binsearchILj256ELj64ELb0EfEEviPKiS2_PT2_S2_PiS2_S5_S5_d21rocsparse_index_base_imNS_24const_host_device_scalarIfEENS7_IdEENS7_IS3_EEb
		.amdhsa_group_segment_fixed_size 0
		.amdhsa_private_segment_fixed_size 0
		.amdhsa_kernarg_size 124
		.amdhsa_user_sgpr_count 2
		.amdhsa_user_sgpr_dispatch_ptr 0
		.amdhsa_user_sgpr_queue_ptr 0
		.amdhsa_user_sgpr_kernarg_segment_ptr 1
		.amdhsa_user_sgpr_dispatch_id 0
		.amdhsa_user_sgpr_private_segment_size 0
		.amdhsa_wavefront_size32 1
		.amdhsa_uses_dynamic_stack 0
		.amdhsa_enable_private_segment 0
		.amdhsa_system_sgpr_workgroup_id_x 1
		.amdhsa_system_sgpr_workgroup_id_y 0
		.amdhsa_system_sgpr_workgroup_id_z 0
		.amdhsa_system_sgpr_workgroup_info 0
		.amdhsa_system_vgpr_workitem_id 0
		.amdhsa_next_free_vgpr 24
		.amdhsa_next_free_sgpr 31
		.amdhsa_reserve_vcc 1
		.amdhsa_float_round_mode_32 0
		.amdhsa_float_round_mode_16_64 0
		.amdhsa_float_denorm_mode_32 3
		.amdhsa_float_denorm_mode_16_64 3
		.amdhsa_fp16_overflow 0
		.amdhsa_workgroup_processor_mode 1
		.amdhsa_memory_ordered 1
		.amdhsa_forward_progress 1
		.amdhsa_inst_pref_size 16
		.amdhsa_round_robin_scheduling 0
		.amdhsa_exception_fp_ieee_invalid_op 0
		.amdhsa_exception_fp_denorm_src 0
		.amdhsa_exception_fp_ieee_div_zero 0
		.amdhsa_exception_fp_ieee_overflow 0
		.amdhsa_exception_fp_ieee_underflow 0
		.amdhsa_exception_fp_ieee_inexact 0
		.amdhsa_exception_int_div_zero 0
	.end_amdhsa_kernel
	.section	.text._ZN9rocsparseL17csrilu0_binsearchILj256ELj64ELb0EfEEviPKiS2_PT2_S2_PiS2_S5_S5_d21rocsparse_index_base_imNS_24const_host_device_scalarIfEENS7_IdEENS7_IS3_EEb,"axG",@progbits,_ZN9rocsparseL17csrilu0_binsearchILj256ELj64ELb0EfEEviPKiS2_PT2_S2_PiS2_S5_S5_d21rocsparse_index_base_imNS_24const_host_device_scalarIfEENS7_IdEENS7_IS3_EEb,comdat
.Lfunc_end12:
	.size	_ZN9rocsparseL17csrilu0_binsearchILj256ELj64ELb0EfEEviPKiS2_PT2_S2_PiS2_S5_S5_d21rocsparse_index_base_imNS_24const_host_device_scalarIfEENS7_IdEENS7_IS3_EEb, .Lfunc_end12-_ZN9rocsparseL17csrilu0_binsearchILj256ELj64ELb0EfEEviPKiS2_PT2_S2_PiS2_S5_S5_d21rocsparse_index_base_imNS_24const_host_device_scalarIfEENS7_IdEENS7_IS3_EEb
                                        ; -- End function
	.set _ZN9rocsparseL17csrilu0_binsearchILj256ELj64ELb0EfEEviPKiS2_PT2_S2_PiS2_S5_S5_d21rocsparse_index_base_imNS_24const_host_device_scalarIfEENS7_IdEENS7_IS3_EEb.num_vgpr, 24
	.set _ZN9rocsparseL17csrilu0_binsearchILj256ELj64ELb0EfEEviPKiS2_PT2_S2_PiS2_S5_S5_d21rocsparse_index_base_imNS_24const_host_device_scalarIfEENS7_IdEENS7_IS3_EEb.num_agpr, 0
	.set _ZN9rocsparseL17csrilu0_binsearchILj256ELj64ELb0EfEEviPKiS2_PT2_S2_PiS2_S5_S5_d21rocsparse_index_base_imNS_24const_host_device_scalarIfEENS7_IdEENS7_IS3_EEb.numbered_sgpr, 31
	.set _ZN9rocsparseL17csrilu0_binsearchILj256ELj64ELb0EfEEviPKiS2_PT2_S2_PiS2_S5_S5_d21rocsparse_index_base_imNS_24const_host_device_scalarIfEENS7_IdEENS7_IS3_EEb.num_named_barrier, 0
	.set _ZN9rocsparseL17csrilu0_binsearchILj256ELj64ELb0EfEEviPKiS2_PT2_S2_PiS2_S5_S5_d21rocsparse_index_base_imNS_24const_host_device_scalarIfEENS7_IdEENS7_IS3_EEb.private_seg_size, 0
	.set _ZN9rocsparseL17csrilu0_binsearchILj256ELj64ELb0EfEEviPKiS2_PT2_S2_PiS2_S5_S5_d21rocsparse_index_base_imNS_24const_host_device_scalarIfEENS7_IdEENS7_IS3_EEb.uses_vcc, 1
	.set _ZN9rocsparseL17csrilu0_binsearchILj256ELj64ELb0EfEEviPKiS2_PT2_S2_PiS2_S5_S5_d21rocsparse_index_base_imNS_24const_host_device_scalarIfEENS7_IdEENS7_IS3_EEb.uses_flat_scratch, 0
	.set _ZN9rocsparseL17csrilu0_binsearchILj256ELj64ELb0EfEEviPKiS2_PT2_S2_PiS2_S5_S5_d21rocsparse_index_base_imNS_24const_host_device_scalarIfEENS7_IdEENS7_IS3_EEb.has_dyn_sized_stack, 0
	.set _ZN9rocsparseL17csrilu0_binsearchILj256ELj64ELb0EfEEviPKiS2_PT2_S2_PiS2_S5_S5_d21rocsparse_index_base_imNS_24const_host_device_scalarIfEENS7_IdEENS7_IS3_EEb.has_recursion, 0
	.set _ZN9rocsparseL17csrilu0_binsearchILj256ELj64ELb0EfEEviPKiS2_PT2_S2_PiS2_S5_S5_d21rocsparse_index_base_imNS_24const_host_device_scalarIfEENS7_IdEENS7_IS3_EEb.has_indirect_call, 0
	.section	.AMDGPU.csdata,"",@progbits
; Kernel info:
; codeLenInByte = 1976
; TotalNumSgprs: 33
; NumVgprs: 24
; ScratchSize: 0
; MemoryBound: 0
; FloatMode: 240
; IeeeMode: 1
; LDSByteSize: 0 bytes/workgroup (compile time only)
; SGPRBlocks: 0
; VGPRBlocks: 2
; NumSGPRsForWavesPerEU: 33
; NumVGPRsForWavesPerEU: 24
; Occupancy: 16
; WaveLimiterHint : 1
; COMPUTE_PGM_RSRC2:SCRATCH_EN: 0
; COMPUTE_PGM_RSRC2:USER_SGPR: 2
; COMPUTE_PGM_RSRC2:TRAP_HANDLER: 0
; COMPUTE_PGM_RSRC2:TGID_X_EN: 1
; COMPUTE_PGM_RSRC2:TGID_Y_EN: 0
; COMPUTE_PGM_RSRC2:TGID_Z_EN: 0
; COMPUTE_PGM_RSRC2:TIDIG_COMP_CNT: 0
	.section	.text._ZN9rocsparseL17csrilu0_binsearchILj256ELj64ELb1EdEEviPKiS2_PT2_S2_PiS2_S5_S5_d21rocsparse_index_base_imNS_24const_host_device_scalarIfEENS7_IdEENS7_IS3_EEb,"axG",@progbits,_ZN9rocsparseL17csrilu0_binsearchILj256ELj64ELb1EdEEviPKiS2_PT2_S2_PiS2_S5_S5_d21rocsparse_index_base_imNS_24const_host_device_scalarIfEENS7_IdEENS7_IS3_EEb,comdat
	.globl	_ZN9rocsparseL17csrilu0_binsearchILj256ELj64ELb1EdEEviPKiS2_PT2_S2_PiS2_S5_S5_d21rocsparse_index_base_imNS_24const_host_device_scalarIfEENS7_IdEENS7_IS3_EEb ; -- Begin function _ZN9rocsparseL17csrilu0_binsearchILj256ELj64ELb1EdEEviPKiS2_PT2_S2_PiS2_S5_S5_d21rocsparse_index_base_imNS_24const_host_device_scalarIfEENS7_IdEENS7_IS3_EEb
	.p2align	8
	.type	_ZN9rocsparseL17csrilu0_binsearchILj256ELj64ELb1EdEEviPKiS2_PT2_S2_PiS2_S5_S5_d21rocsparse_index_base_imNS_24const_host_device_scalarIfEENS7_IdEENS7_IS3_EEb,@function
_ZN9rocsparseL17csrilu0_binsearchILj256ELj64ELb1EdEEviPKiS2_PT2_S2_PiS2_S5_S5_d21rocsparse_index_base_imNS_24const_host_device_scalarIfEENS7_IdEENS7_IS3_EEb: ; @_ZN9rocsparseL17csrilu0_binsearchILj256ELj64ELb1EdEEviPKiS2_PT2_S2_PiS2_S5_S5_d21rocsparse_index_base_imNS_24const_host_device_scalarIfEENS7_IdEENS7_IS3_EEb
; %bb.0:
	s_clause 0x2
	s_load_b32 s2, s[0:1], 0x78
	s_load_b64 s[28:29], s[0:1], 0x50
	s_load_b256 s[20:27], s[0:1], 0x58
	s_wait_kmcnt 0x0
	s_bitcmp1_b32 s2, 0
	s_cselect_b32 s2, -1, 0
	s_cmp_eq_u32 s29, 0
	s_cselect_b32 s4, -1, 0
	s_cmp_lg_u32 s29, 0
	s_cselect_b32 s29, -1, 0
	s_or_b32 s6, s4, s2
	s_delay_alu instid0(SALU_CYCLE_1)
	s_xor_b32 s5, s6, -1
	s_and_b32 s2, s4, exec_lo
	s_cselect_b32 s3, 0, s25
	s_cselect_b32 s2, 0, s24
	;; [unrolled: 1-line block ×3, first 2 shown]
	s_and_b32 vcc_lo, exec_lo, s6
	s_cbranch_vccnz .LBB13_2
; %bb.1:
	s_load_b32 s30, s[22:23], 0x0
	s_mov_b64 s[2:3], s[24:25]
.LBB13_2:
	v_cndmask_b32_e64 v1, 0, 1, s5
	v_dual_mov_b32 v4, s3 :: v_dual_mov_b32 v3, s2
	s_and_not1_b32 vcc_lo, exec_lo, s5
	s_cbranch_vccnz .LBB13_4
; %bb.3:
	v_dual_mov_b32 v2, s24 :: v_dual_mov_b32 v3, s25
	flat_load_b64 v[3:4], v[2:3]
.LBB13_4:
	s_and_b32 s2, s4, exec_lo
	s_cselect_b32 s3, 0, s27
	v_cmp_ne_u32_e32 vcc_lo, 1, v1
	s_cselect_b32 s2, 0, s26
	s_wait_alu 0xfffe
	v_dual_mov_b32 v6, s3 :: v_dual_mov_b32 v5, s2
	s_cbranch_vccnz .LBB13_6
; %bb.5:
	v_dual_mov_b32 v1, s26 :: v_dual_mov_b32 v2, s27
	flat_load_b64 v[5:6], v[1:2]
.LBB13_6:
	s_load_b32 s2, s[0:1], 0x0
	v_lshrrev_b32_e32 v1, 6, v0
	s_lshl_b32 s3, ttmp9, 2
	s_wait_alu 0xfffe
	s_delay_alu instid0(VALU_DEP_1) | instskip(SKIP_1) | instid1(VALU_DEP_1)
	v_and_or_b32 v1, 0x3fffffc, s3, v1
	s_wait_kmcnt 0x0
	v_cmp_gt_i32_e32 vcc_lo, s2, v1
	s_and_saveexec_b32 s2, vcc_lo
	s_cbranch_execz .LBB13_44
; %bb.7:
	s_load_b512 s[4:19], s[0:1], 0x8
	v_lshlrev_b32_e32 v1, 2, v1
	v_and_b32_e32 v0, 63, v0
	s_mov_b32 s2, exec_lo
	s_wait_kmcnt 0x0
	global_load_b32 v7, v1, s[14:15]
	s_wait_loadcnt 0x0
	v_ashrrev_i32_e32 v8, 31, v7
	s_delay_alu instid0(VALU_DEP_1) | instskip(NEXT) | instid1(VALU_DEP_1)
	v_lshlrev_b64_e32 v[1:2], 2, v[7:8]
	v_add_co_u32 v10, vcc_lo, s4, v1
	s_delay_alu instid0(VALU_DEP_1)
	v_add_co_ci_u32_e64 v11, null, s5, v2, vcc_lo
	v_add_co_u32 v8, vcc_lo, s10, v1
	s_wait_alu 0xfffd
	v_add_co_ci_u32_e64 v9, null, s11, v2, vcc_lo
	global_load_b32 v12, v[10:11], off
	global_load_b32 v8, v[8:9], off
	s_wait_loadcnt 0x1
	v_subrev_nc_u32_e32 v9, s28, v12
	s_wait_loadcnt 0x0
	s_delay_alu instid0(VALU_DEP_1)
	v_cmpx_lt_i32_e64 v9, v8
	s_cbranch_execz .LBB13_26
; %bb.8:
	global_load_b32 v10, v[10:11], off offset:4
	v_add_nc_u32_e32 v18, 1, v0
	s_mov_b32 s3, 0
	s_wait_loadcnt 0x0
	v_xad_u32 v19, s28, -1, v10
	s_branch .LBB13_11
.LBB13_9:                               ;   in Loop: Header=BB13_11 Depth=1
	s_or_b32 exec_lo, exec_lo, s15
	v_cmp_ge_i32_e32 vcc_lo, v9, v8
	s_or_not1_b32 s15, vcc_lo, exec_lo
.LBB13_10:                              ;   in Loop: Header=BB13_11 Depth=1
	s_or_b32 exec_lo, exec_lo, s14
	s_delay_alu instid0(SALU_CYCLE_1)
	s_and_b32 s14, exec_lo, s15
	s_wait_alu 0xfffe
	s_or_b32 s3, s14, s3
	s_wait_alu 0xfffe
	s_and_not1_b32 exec_lo, exec_lo, s3
	s_cbranch_execz .LBB13_26
.LBB13_11:                              ; =>This Loop Header: Depth=1
                                        ;     Child Loop BB13_14 Depth 2
                                        ;       Child Loop BB13_15 Depth 3
                                        ;     Child Loop BB13_20 Depth 2
                                        ;       Child Loop BB13_22 Depth 3
	v_ashrrev_i32_e32 v10, 31, v9
	s_mov_b32 s14, exec_lo
	s_delay_alu instid0(VALU_DEP_1) | instskip(SKIP_1) | instid1(VALU_DEP_2)
	v_lshlrev_b64_e32 v[11:12], 2, v[9:10]
	v_lshlrev_b64_e32 v[13:14], 3, v[9:10]
	v_add_co_u32 v11, vcc_lo, s6, v11
	s_wait_alu 0xfffd
	s_delay_alu instid0(VALU_DEP_3) | instskip(NEXT) | instid1(VALU_DEP_3)
	v_add_co_ci_u32_e64 v12, null, s7, v12, vcc_lo
	v_add_co_u32 v13, vcc_lo, s8, v13
	s_wait_alu 0xfffd
	v_add_co_ci_u32_e64 v14, null, s9, v14, vcc_lo
	global_load_b32 v11, v[11:12], off
	s_wait_loadcnt 0x0
	v_subrev_nc_u32_e32 v11, s28, v11
	s_delay_alu instid0(VALU_DEP_1) | instskip(NEXT) | instid1(VALU_DEP_1)
	v_ashrrev_i32_e32 v12, 31, v11
	v_lshlrev_b64_e32 v[10:11], 2, v[11:12]
	s_delay_alu instid0(VALU_DEP_1) | instskip(SKIP_1) | instid1(VALU_DEP_2)
	v_add_co_u32 v20, vcc_lo, s4, v10
	s_wait_alu 0xfffd
	v_add_co_ci_u32_e64 v21, null, s5, v11, vcc_lo
	v_add_co_u32 v22, vcc_lo, s10, v10
	s_wait_alu 0xfffd
	v_add_co_ci_u32_e64 v23, null, s11, v11, vcc_lo
	;; [unrolled: 3-line block ×3, first 2 shown]
	global_load_b64 v[10:11], v[13:14], off
	global_load_b32 v17, v[20:21], off offset:4
	global_load_b32 v12, v[22:23], off
	global_load_b32 v20, v[15:16], off scope:SCOPE_DEV
	s_wait_loadcnt 0x0
	v_cmpx_eq_u32_e32 0, v20
	s_cbranch_execz .LBB13_16
; %bb.12:                               ;   in Loop: Header=BB13_11 Depth=1
	s_mov_b32 s15, 0
	s_mov_b32 s22, 0
	s_branch .LBB13_14
.LBB13_13:                              ;   in Loop: Header=BB13_14 Depth=2
	global_load_b32 v20, v[15:16], off scope:SCOPE_DEV
	s_cmp_lt_u32 s22, 0xf43
	s_cselect_b32 s23, -1, 0
	s_delay_alu instid0(SALU_CYCLE_1) | instskip(SKIP_4) | instid1(SALU_CYCLE_1)
	s_cmp_lg_u32 s23, 0
	s_add_co_ci_u32 s22, s22, 0
	s_wait_loadcnt 0x0
	v_cmp_ne_u32_e32 vcc_lo, 0, v20
	s_or_b32 s15, vcc_lo, s15
	s_and_not1_b32 exec_lo, exec_lo, s15
	s_cbranch_execz .LBB13_16
.LBB13_14:                              ;   Parent Loop BB13_11 Depth=1
                                        ; =>  This Loop Header: Depth=2
                                        ;       Child Loop BB13_15 Depth 3
	s_cmp_eq_u32 s22, 0
	s_mov_b32 s23, s22
	s_cbranch_scc1 .LBB13_13
.LBB13_15:                              ;   Parent Loop BB13_11 Depth=1
                                        ;     Parent Loop BB13_14 Depth=2
                                        ; =>    This Inner Loop Header: Depth=3
	s_add_co_i32 s23, s23, -1
	s_sleep 1
	s_cmp_eq_u32 s23, 0
	s_cbranch_scc0 .LBB13_15
	s_branch .LBB13_13
.LBB13_16:                              ;   in Loop: Header=BB13_11 Depth=1
	s_or_b32 exec_lo, exec_lo, s14
	v_subrev_nc_u32_e32 v20, s28, v17
	v_cmp_eq_u32_e32 vcc_lo, -1, v12
	s_wait_dscnt 0x0
	global_inv scope:SCOPE_DEV
	s_mov_b32 s15, -1
	s_mov_b32 s14, exec_lo
	v_add_nc_u32_e32 v15, -1, v20
	s_wait_alu 0xfffd
	s_delay_alu instid0(VALU_DEP_1) | instskip(NEXT) | instid1(VALU_DEP_1)
	v_cndmask_b32_e32 v15, v12, v15, vcc_lo
	v_ashrrev_i32_e32 v16, 31, v15
	s_delay_alu instid0(VALU_DEP_1) | instskip(NEXT) | instid1(VALU_DEP_1)
	v_lshlrev_b64_e32 v[16:17], 3, v[15:16]
	v_add_co_u32 v16, vcc_lo, s8, v16
	s_wait_alu 0xfffd
	s_delay_alu instid0(VALU_DEP_2)
	v_add_co_ci_u32_e64 v17, null, s9, v17, vcc_lo
	global_load_b64 v[16:17], v[16:17], off
	s_wait_loadcnt 0x0
	v_cmpx_neq_f64_e32 0, v[16:17]
	s_xor_b32 s14, exec_lo, s14
	s_cbranch_execz .LBB13_10
; %bb.17:                               ;   in Loop: Header=BB13_11 Depth=1
	v_div_scale_f64 v[21:22], null, v[16:17], v[16:17], v[10:11]
	v_add_nc_u32_e32 v12, v18, v15
	v_add_nc_u32_e32 v9, 1, v9
	s_mov_b32 s15, exec_lo
	s_delay_alu instid0(VALU_DEP_3) | instskip(NEXT) | instid1(TRANS32_DEP_1)
	v_rcp_f64_e32 v[23:24], v[21:22]
	v_fma_f64 v[25:26], -v[21:22], v[23:24], 1.0
	s_delay_alu instid0(VALU_DEP_1) | instskip(NEXT) | instid1(VALU_DEP_1)
	v_fma_f64 v[23:24], v[23:24], v[25:26], v[23:24]
	v_fma_f64 v[25:26], -v[21:22], v[23:24], 1.0
	s_delay_alu instid0(VALU_DEP_1) | instskip(SKIP_1) | instid1(VALU_DEP_1)
	v_fma_f64 v[23:24], v[23:24], v[25:26], v[23:24]
	v_div_scale_f64 v[25:26], vcc_lo, v[10:11], v[16:17], v[10:11]
	v_mul_f64_e32 v[27:28], v[25:26], v[23:24]
	s_delay_alu instid0(VALU_DEP_1) | instskip(SKIP_1) | instid1(VALU_DEP_1)
	v_fma_f64 v[21:22], -v[21:22], v[27:28], v[25:26]
	s_wait_alu 0xfffd
	v_div_fmas_f64 v[21:22], v[21:22], v[23:24], v[27:28]
	s_delay_alu instid0(VALU_DEP_1)
	v_div_fixup_f64 v[10:11], v[21:22], v[16:17], v[10:11]
	global_store_b64 v[13:14], v[10:11], off
	v_cmpx_lt_i32_e64 v12, v20
	s_cbranch_execz .LBB13_9
; %bb.18:                               ;   in Loop: Header=BB13_11 Depth=1
	v_mov_b32_e32 v14, v9
	s_mov_b32 s22, 0
	s_branch .LBB13_20
.LBB13_19:                              ;   in Loop: Header=BB13_20 Depth=2
	s_or_b32 exec_lo, exec_lo, s23
	v_add_nc_u32_e32 v12, 64, v12
	s_delay_alu instid0(VALU_DEP_1) | instskip(SKIP_1) | instid1(SALU_CYCLE_1)
	v_cmp_ge_i32_e32 vcc_lo, v12, v20
	s_or_b32 s22, vcc_lo, s22
	s_and_not1_b32 exec_lo, exec_lo, s22
	s_cbranch_execz .LBB13_9
.LBB13_20:                              ;   Parent Loop BB13_11 Depth=1
                                        ; =>  This Loop Header: Depth=2
                                        ;       Child Loop BB13_22 Depth 3
	s_delay_alu instid0(VALU_DEP_1) | instskip(SKIP_1) | instid1(VALU_DEP_1)
	v_add_nc_u32_e32 v13, v14, v19
	s_mov_b32 s23, exec_lo
	v_ashrrev_i32_e32 v15, 1, v13
	v_ashrrev_i32_e32 v13, 31, v12
	s_delay_alu instid0(VALU_DEP_2) | instskip(NEXT) | instid1(VALU_DEP_2)
	v_ashrrev_i32_e32 v16, 31, v15
	v_lshlrev_b64_e32 v[21:22], 2, v[12:13]
	s_delay_alu instid0(VALU_DEP_2) | instskip(NEXT) | instid1(VALU_DEP_2)
	v_lshlrev_b64_e32 v[16:17], 2, v[15:16]
	v_add_co_u32 v21, vcc_lo, s6, v21
	s_wait_alu 0xfffd
	s_delay_alu instid0(VALU_DEP_3) | instskip(NEXT) | instid1(VALU_DEP_3)
	v_add_co_ci_u32_e64 v22, null, s7, v22, vcc_lo
	v_add_co_u32 v23, vcc_lo, s6, v16
	s_wait_alu 0xfffd
	v_add_co_ci_u32_e64 v24, null, s7, v17, vcc_lo
	s_clause 0x1
	global_load_b32 v17, v[21:22], off
	global_load_b32 v16, v[23:24], off
	v_cmpx_lt_i32_e64 v14, v19
	s_cbranch_execz .LBB13_24
; %bb.21:                               ;   in Loop: Header=BB13_20 Depth=2
	v_mov_b32_e32 v21, v19
	s_mov_b32 s24, 0
.LBB13_22:                              ;   Parent Loop BB13_11 Depth=1
                                        ;     Parent Loop BB13_20 Depth=2
                                        ; =>    This Inner Loop Header: Depth=3
	s_wait_loadcnt 0x0
	v_cmp_lt_i32_e32 vcc_lo, v16, v17
	s_wait_alu 0xfffd
	v_dual_cndmask_b32 v21, v15, v21 :: v_dual_add_nc_u32 v22, 1, v15
	s_delay_alu instid0(VALU_DEP_1) | instskip(NEXT) | instid1(VALU_DEP_1)
	v_cndmask_b32_e32 v14, v14, v22, vcc_lo
	v_add_nc_u32_e32 v15, v21, v14
	s_delay_alu instid0(VALU_DEP_1) | instskip(NEXT) | instid1(VALU_DEP_1)
	v_ashrrev_i32_e32 v15, 1, v15
	v_ashrrev_i32_e32 v16, 31, v15
	s_delay_alu instid0(VALU_DEP_1) | instskip(NEXT) | instid1(VALU_DEP_1)
	v_lshlrev_b64_e32 v[22:23], 2, v[15:16]
	v_add_co_u32 v22, vcc_lo, s6, v22
	s_wait_alu 0xfffd
	s_delay_alu instid0(VALU_DEP_2)
	v_add_co_ci_u32_e64 v23, null, s7, v23, vcc_lo
	v_cmp_ge_i32_e32 vcc_lo, v14, v21
	global_load_b32 v16, v[22:23], off
	s_wait_alu 0xfffe
	s_or_b32 s24, vcc_lo, s24
	s_wait_alu 0xfffe
	s_and_not1_b32 exec_lo, exec_lo, s24
	s_cbranch_execnz .LBB13_22
; %bb.23:                               ;   in Loop: Header=BB13_20 Depth=2
	s_or_b32 exec_lo, exec_lo, s24
.LBB13_24:                              ;   in Loop: Header=BB13_20 Depth=2
	s_delay_alu instid0(SALU_CYCLE_1) | instskip(NEXT) | instid1(SALU_CYCLE_1)
	s_or_b32 exec_lo, exec_lo, s23
	s_mov_b32 s23, exec_lo
	s_wait_loadcnt 0x0
	v_cmpx_eq_u32_e64 v16, v17
	s_cbranch_execz .LBB13_19
; %bb.25:                               ;   in Loop: Header=BB13_20 Depth=2
	v_ashrrev_i32_e32 v15, 31, v14
	v_lshlrev_b64_e32 v[16:17], 3, v[12:13]
	s_delay_alu instid0(VALU_DEP_2) | instskip(NEXT) | instid1(VALU_DEP_2)
	v_lshlrev_b64_e32 v[21:22], 3, v[14:15]
	v_add_co_u32 v15, vcc_lo, s8, v16
	s_wait_alu 0xfffd
	s_delay_alu instid0(VALU_DEP_3) | instskip(NEXT) | instid1(VALU_DEP_3)
	v_add_co_ci_u32_e64 v16, null, s9, v17, vcc_lo
	v_add_co_u32 v21, vcc_lo, s8, v21
	s_wait_alu 0xfffd
	v_add_co_ci_u32_e64 v22, null, s9, v22, vcc_lo
	s_clause 0x1
	global_load_b64 v[15:16], v[15:16], off
	global_load_b64 v[23:24], v[21:22], off
	s_wait_loadcnt 0x0
	v_fma_f64 v[15:16], -v[10:11], v[15:16], v[23:24]
	global_store_b64 v[21:22], v[15:16], off
	s_branch .LBB13_19
.LBB13_26:
	s_wait_alu 0xfffe
	s_or_b32 exec_lo, exec_lo, s2
	s_mov_b32 s4, -1
	s_mov_b32 s3, exec_lo
	s_wait_storecnt_dscnt 0x0
	global_inv scope:SCOPE_SE
	v_cmpx_lt_i32_e32 -1, v8
	s_cbranch_execz .LBB13_42
; %bb.27:
	v_mov_b32_e32 v9, 0
	v_cmp_eq_u32_e64 s2, 0, v0
	s_delay_alu instid0(VALU_DEP_2) | instskip(NEXT) | instid1(VALU_DEP_1)
	v_lshlrev_b64_e32 v[8:9], 3, v[8:9]
	v_add_co_u32 v10, vcc_lo, s8, v8
	s_wait_alu 0xfffd
	s_delay_alu instid0(VALU_DEP_2)
	v_add_co_ci_u32_e64 v11, null, s9, v9, vcc_lo
	global_load_b64 v[8:9], v[10:11], off
	s_wait_loadcnt 0x0
	v_cmp_gt_f64_e32 vcc_lo, 0, v[8:9]
	v_xor_b32_e32 v13, 0x80000000, v9
	s_wait_alu 0xfffd
	s_delay_alu instid0(VALU_DEP_1)
	v_dual_mov_b32 v12, v8 :: v_dual_cndmask_b32 v13, v9, v13
	s_and_not1_b32 vcc_lo, exec_lo, s29
	s_wait_alu 0xfffe
	s_cbranch_vccnz .LBB13_31
; %bb.28:
	v_cvt_f64_f32_e32 v[14:15], s30
	s_cmp_eq_u64 s[20:21], 8
	s_cselect_b32 vcc_lo, -1, 0
	s_wait_alu 0xfffe
	s_delay_alu instid0(VALU_DEP_1) | instskip(NEXT) | instid1(VALU_DEP_1)
	v_dual_cndmask_b32 v4, v15, v4 :: v_dual_cndmask_b32 v3, v14, v3
	v_cmp_le_f64_e32 vcc_lo, v[12:13], v[3:4]
	s_and_b32 s5, s2, vcc_lo
	s_wait_alu 0xfffe
	s_and_saveexec_b32 s4, s5
	s_cbranch_execz .LBB13_30
; %bb.29:
	global_store_b64 v[10:11], v[5:6], off
.LBB13_30:
	s_wait_alu 0xfffe
	s_or_b32 exec_lo, exec_lo, s4
	s_mov_b32 s4, 0
.LBB13_31:
	s_wait_alu 0xfffe
	s_and_not1_b32 vcc_lo, exec_lo, s4
	s_wait_alu 0xfffe
	s_cbranch_vccnz .LBB13_42
; %bb.32:
	s_load_b64 s[0:1], s[0:1], 0x48
	v_add_nc_u32_e32 v3, s28, v7
	s_wait_kmcnt 0x0
	v_cmp_ge_f64_e32 vcc_lo, s[0:1], v[12:13]
	s_and_b32 s1, s2, vcc_lo
	s_wait_alu 0xfffe
	s_and_saveexec_b32 s0, s1
	s_cbranch_execz .LBB13_37
; %bb.33:
	s_mov_b32 s4, exec_lo
	s_brev_b32 s1, -2
.LBB13_34:                              ; =>This Inner Loop Header: Depth=1
	s_wait_alu 0xfffe
	s_ctz_i32_b32 s5, s4
	s_wait_alu 0xfffe
	v_readlane_b32 s6, v3, s5
	s_lshl_b32 s5, 1, s5
	s_wait_alu 0xfffe
	s_and_not1_b32 s4, s4, s5
	s_min_i32 s1, s1, s6
	s_wait_alu 0xfffe
	s_cmp_lg_u32 s4, 0
	s_cbranch_scc1 .LBB13_34
; %bb.35:
	v_mbcnt_lo_u32_b32 v4, exec_lo, 0
	s_mov_b32 s4, exec_lo
	s_delay_alu instid0(VALU_DEP_1)
	v_cmpx_eq_u32_e32 0, v4
	s_wait_alu 0xfffe
	s_xor_b32 s4, exec_lo, s4
	s_cbranch_execz .LBB13_37
; %bb.36:
	v_dual_mov_b32 v4, 0 :: v_dual_mov_b32 v5, s1
	global_atomic_min_i32 v4, v5, s[18:19] scope:SCOPE_DEV
.LBB13_37:
	s_wait_alu 0xfffe
	s_or_b32 exec_lo, exec_lo, s0
	v_cmp_eq_f64_e32 vcc_lo, 0, v[8:9]
	s_and_b32 s0, s2, vcc_lo
	s_wait_alu 0xfffe
	s_and_b32 exec_lo, exec_lo, s0
	s_cbranch_execz .LBB13_42
; %bb.38:
	s_mov_b32 s1, exec_lo
	s_brev_b32 s0, -2
.LBB13_39:                              ; =>This Inner Loop Header: Depth=1
	s_wait_alu 0xfffe
	s_ctz_i32_b32 s2, s1
	s_wait_alu 0xfffe
	v_readlane_b32 s4, v3, s2
	s_lshl_b32 s2, 1, s2
	s_wait_alu 0xfffe
	s_and_not1_b32 s1, s1, s2
	s_min_i32 s0, s0, s4
	s_wait_alu 0xfffe
	s_cmp_lg_u32 s1, 0
	s_cbranch_scc1 .LBB13_39
; %bb.40:
	v_mbcnt_lo_u32_b32 v3, exec_lo, 0
	s_mov_b32 s1, exec_lo
	s_delay_alu instid0(VALU_DEP_1)
	v_cmpx_eq_u32_e32 0, v3
	s_wait_alu 0xfffe
	s_xor_b32 s1, exec_lo, s1
	s_cbranch_execz .LBB13_42
; %bb.41:
	v_dual_mov_b32 v3, 0 :: v_dual_mov_b32 v4, s0
	global_atomic_min_i32 v3, v4, s[16:17] scope:SCOPE_DEV
.LBB13_42:
	s_wait_alu 0xfffe
	s_or_b32 exec_lo, exec_lo, s3
	v_cmp_eq_u32_e32 vcc_lo, 0, v0
	s_wait_loadcnt 0x0
	s_wait_storecnt 0x0
	global_inv scope:SCOPE_DEV
	s_and_b32 exec_lo, exec_lo, vcc_lo
	s_cbranch_execz .LBB13_44
; %bb.43:
	v_add_co_u32 v0, vcc_lo, s12, v1
	s_wait_alu 0xfffd
	v_add_co_ci_u32_e64 v1, null, s13, v2, vcc_lo
	v_mov_b32_e32 v2, 1
	s_wait_loadcnt 0x0
	global_store_b32 v[0:1], v2, off scope:SCOPE_DEV
.LBB13_44:
	s_endpgm
	.section	.rodata,"a",@progbits
	.p2align	6, 0x0
	.amdhsa_kernel _ZN9rocsparseL17csrilu0_binsearchILj256ELj64ELb1EdEEviPKiS2_PT2_S2_PiS2_S5_S5_d21rocsparse_index_base_imNS_24const_host_device_scalarIfEENS7_IdEENS7_IS3_EEb
		.amdhsa_group_segment_fixed_size 0
		.amdhsa_private_segment_fixed_size 0
		.amdhsa_kernarg_size 124
		.amdhsa_user_sgpr_count 2
		.amdhsa_user_sgpr_dispatch_ptr 0
		.amdhsa_user_sgpr_queue_ptr 0
		.amdhsa_user_sgpr_kernarg_segment_ptr 1
		.amdhsa_user_sgpr_dispatch_id 0
		.amdhsa_user_sgpr_private_segment_size 0
		.amdhsa_wavefront_size32 1
		.amdhsa_uses_dynamic_stack 0
		.amdhsa_enable_private_segment 0
		.amdhsa_system_sgpr_workgroup_id_x 1
		.amdhsa_system_sgpr_workgroup_id_y 0
		.amdhsa_system_sgpr_workgroup_id_z 0
		.amdhsa_system_sgpr_workgroup_info 0
		.amdhsa_system_vgpr_workitem_id 0
		.amdhsa_next_free_vgpr 29
		.amdhsa_next_free_sgpr 31
		.amdhsa_reserve_vcc 1
		.amdhsa_float_round_mode_32 0
		.amdhsa_float_round_mode_16_64 0
		.amdhsa_float_denorm_mode_32 3
		.amdhsa_float_denorm_mode_16_64 3
		.amdhsa_fp16_overflow 0
		.amdhsa_workgroup_processor_mode 1
		.amdhsa_memory_ordered 1
		.amdhsa_forward_progress 1
		.amdhsa_inst_pref_size 17
		.amdhsa_round_robin_scheduling 0
		.amdhsa_exception_fp_ieee_invalid_op 0
		.amdhsa_exception_fp_denorm_src 0
		.amdhsa_exception_fp_ieee_div_zero 0
		.amdhsa_exception_fp_ieee_overflow 0
		.amdhsa_exception_fp_ieee_underflow 0
		.amdhsa_exception_fp_ieee_inexact 0
		.amdhsa_exception_int_div_zero 0
	.end_amdhsa_kernel
	.section	.text._ZN9rocsparseL17csrilu0_binsearchILj256ELj64ELb1EdEEviPKiS2_PT2_S2_PiS2_S5_S5_d21rocsparse_index_base_imNS_24const_host_device_scalarIfEENS7_IdEENS7_IS3_EEb,"axG",@progbits,_ZN9rocsparseL17csrilu0_binsearchILj256ELj64ELb1EdEEviPKiS2_PT2_S2_PiS2_S5_S5_d21rocsparse_index_base_imNS_24const_host_device_scalarIfEENS7_IdEENS7_IS3_EEb,comdat
.Lfunc_end13:
	.size	_ZN9rocsparseL17csrilu0_binsearchILj256ELj64ELb1EdEEviPKiS2_PT2_S2_PiS2_S5_S5_d21rocsparse_index_base_imNS_24const_host_device_scalarIfEENS7_IdEENS7_IS3_EEb, .Lfunc_end13-_ZN9rocsparseL17csrilu0_binsearchILj256ELj64ELb1EdEEviPKiS2_PT2_S2_PiS2_S5_S5_d21rocsparse_index_base_imNS_24const_host_device_scalarIfEENS7_IdEENS7_IS3_EEb
                                        ; -- End function
	.set _ZN9rocsparseL17csrilu0_binsearchILj256ELj64ELb1EdEEviPKiS2_PT2_S2_PiS2_S5_S5_d21rocsparse_index_base_imNS_24const_host_device_scalarIfEENS7_IdEENS7_IS3_EEb.num_vgpr, 29
	.set _ZN9rocsparseL17csrilu0_binsearchILj256ELj64ELb1EdEEviPKiS2_PT2_S2_PiS2_S5_S5_d21rocsparse_index_base_imNS_24const_host_device_scalarIfEENS7_IdEENS7_IS3_EEb.num_agpr, 0
	.set _ZN9rocsparseL17csrilu0_binsearchILj256ELj64ELb1EdEEviPKiS2_PT2_S2_PiS2_S5_S5_d21rocsparse_index_base_imNS_24const_host_device_scalarIfEENS7_IdEENS7_IS3_EEb.numbered_sgpr, 31
	.set _ZN9rocsparseL17csrilu0_binsearchILj256ELj64ELb1EdEEviPKiS2_PT2_S2_PiS2_S5_S5_d21rocsparse_index_base_imNS_24const_host_device_scalarIfEENS7_IdEENS7_IS3_EEb.num_named_barrier, 0
	.set _ZN9rocsparseL17csrilu0_binsearchILj256ELj64ELb1EdEEviPKiS2_PT2_S2_PiS2_S5_S5_d21rocsparse_index_base_imNS_24const_host_device_scalarIfEENS7_IdEENS7_IS3_EEb.private_seg_size, 0
	.set _ZN9rocsparseL17csrilu0_binsearchILj256ELj64ELb1EdEEviPKiS2_PT2_S2_PiS2_S5_S5_d21rocsparse_index_base_imNS_24const_host_device_scalarIfEENS7_IdEENS7_IS3_EEb.uses_vcc, 1
	.set _ZN9rocsparseL17csrilu0_binsearchILj256ELj64ELb1EdEEviPKiS2_PT2_S2_PiS2_S5_S5_d21rocsparse_index_base_imNS_24const_host_device_scalarIfEENS7_IdEENS7_IS3_EEb.uses_flat_scratch, 0
	.set _ZN9rocsparseL17csrilu0_binsearchILj256ELj64ELb1EdEEviPKiS2_PT2_S2_PiS2_S5_S5_d21rocsparse_index_base_imNS_24const_host_device_scalarIfEENS7_IdEENS7_IS3_EEb.has_dyn_sized_stack, 0
	.set _ZN9rocsparseL17csrilu0_binsearchILj256ELj64ELb1EdEEviPKiS2_PT2_S2_PiS2_S5_S5_d21rocsparse_index_base_imNS_24const_host_device_scalarIfEENS7_IdEENS7_IS3_EEb.has_recursion, 0
	.set _ZN9rocsparseL17csrilu0_binsearchILj256ELj64ELb1EdEEviPKiS2_PT2_S2_PiS2_S5_S5_d21rocsparse_index_base_imNS_24const_host_device_scalarIfEENS7_IdEENS7_IS3_EEb.has_indirect_call, 0
	.section	.AMDGPU.csdata,"",@progbits
; Kernel info:
; codeLenInByte = 2076
; TotalNumSgprs: 33
; NumVgprs: 29
; ScratchSize: 0
; MemoryBound: 0
; FloatMode: 240
; IeeeMode: 1
; LDSByteSize: 0 bytes/workgroup (compile time only)
; SGPRBlocks: 0
; VGPRBlocks: 3
; NumSGPRsForWavesPerEU: 33
; NumVGPRsForWavesPerEU: 29
; Occupancy: 16
; WaveLimiterHint : 1
; COMPUTE_PGM_RSRC2:SCRATCH_EN: 0
; COMPUTE_PGM_RSRC2:USER_SGPR: 2
; COMPUTE_PGM_RSRC2:TRAP_HANDLER: 0
; COMPUTE_PGM_RSRC2:TGID_X_EN: 1
; COMPUTE_PGM_RSRC2:TGID_Y_EN: 0
; COMPUTE_PGM_RSRC2:TGID_Z_EN: 0
; COMPUTE_PGM_RSRC2:TIDIG_COMP_CNT: 0
	.section	.text._ZN9rocsparseL12csrilu0_hashILj256ELj32ELj1EdEEviPKiS2_PT2_S2_PiS2_S5_S5_d21rocsparse_index_base_imNS_24const_host_device_scalarIfEENS7_IdEENS7_IS3_EEb,"axG",@progbits,_ZN9rocsparseL12csrilu0_hashILj256ELj32ELj1EdEEviPKiS2_PT2_S2_PiS2_S5_S5_d21rocsparse_index_base_imNS_24const_host_device_scalarIfEENS7_IdEENS7_IS3_EEb,comdat
	.globl	_ZN9rocsparseL12csrilu0_hashILj256ELj32ELj1EdEEviPKiS2_PT2_S2_PiS2_S5_S5_d21rocsparse_index_base_imNS_24const_host_device_scalarIfEENS7_IdEENS7_IS3_EEb ; -- Begin function _ZN9rocsparseL12csrilu0_hashILj256ELj32ELj1EdEEviPKiS2_PT2_S2_PiS2_S5_S5_d21rocsparse_index_base_imNS_24const_host_device_scalarIfEENS7_IdEENS7_IS3_EEb
	.p2align	8
	.type	_ZN9rocsparseL12csrilu0_hashILj256ELj32ELj1EdEEviPKiS2_PT2_S2_PiS2_S5_S5_d21rocsparse_index_base_imNS_24const_host_device_scalarIfEENS7_IdEENS7_IS3_EEb,@function
_ZN9rocsparseL12csrilu0_hashILj256ELj32ELj1EdEEviPKiS2_PT2_S2_PiS2_S5_S5_d21rocsparse_index_base_imNS_24const_host_device_scalarIfEENS7_IdEENS7_IS3_EEb: ; @_ZN9rocsparseL12csrilu0_hashILj256ELj32ELj1EdEEviPKiS2_PT2_S2_PiS2_S5_S5_d21rocsparse_index_base_imNS_24const_host_device_scalarIfEENS7_IdEENS7_IS3_EEb
; %bb.0:
	s_clause 0x2
	s_load_b32 s2, s[0:1], 0x78
	s_load_b64 s[28:29], s[0:1], 0x50
	s_load_b256 s[20:27], s[0:1], 0x58
	s_wait_kmcnt 0x0
	s_bitcmp1_b32 s2, 0
	s_cselect_b32 s2, -1, 0
	s_cmp_eq_u32 s29, 0
	s_cselect_b32 s4, -1, 0
	s_cmp_lg_u32 s29, 0
	s_cselect_b32 s29, -1, 0
	s_or_b32 s6, s4, s2
	s_delay_alu instid0(SALU_CYCLE_1)
	s_xor_b32 s5, s6, -1
	s_and_b32 s2, s4, exec_lo
	s_cselect_b32 s3, 0, s25
	s_cselect_b32 s2, 0, s24
	s_cselect_b32 s30, 0, s22
	s_and_b32 vcc_lo, exec_lo, s6
	s_cbranch_vccnz .LBB14_2
; %bb.1:
	s_load_b32 s30, s[22:23], 0x0
	s_mov_b64 s[2:3], s[24:25]
.LBB14_2:
	v_cndmask_b32_e64 v1, 0, 1, s5
	v_dual_mov_b32 v2, s2 :: v_dual_mov_b32 v3, s3
	s_and_not1_b32 vcc_lo, exec_lo, s5
	s_cbranch_vccnz .LBB14_4
; %bb.3:
	v_dual_mov_b32 v2, s24 :: v_dual_mov_b32 v3, s25
	flat_load_b64 v[2:3], v[2:3]
.LBB14_4:
	s_and_b32 s2, s4, exec_lo
	s_cselect_b32 s3, 0, s27
	v_cmp_ne_u32_e32 vcc_lo, 1, v1
	s_cselect_b32 s2, 0, s26
	s_wait_alu 0xfffe
	v_dual_mov_b32 v5, s3 :: v_dual_mov_b32 v4, s2
	s_cbranch_vccnz .LBB14_6
; %bb.5:
	v_dual_mov_b32 v4, s26 :: v_dual_mov_b32 v5, s27
	flat_load_b64 v[4:5], v[4:5]
.LBB14_6:
	s_load_b32 s2, s[0:1], 0x0
	v_and_b32_e32 v10, 0xe0, v0
	v_lshrrev_b32_e32 v1, 5, v0
	s_lshl_b32 s3, ttmp9, 3
	v_dual_mov_b32 v6, -1 :: v_dual_and_b32 v17, 31, v0
	s_delay_alu instid0(VALU_DEP_3) | instskip(SKIP_2) | instid1(VALU_DEP_2)
	v_lshl_or_b32 v18, v10, 2, 0x400
	s_wait_alu 0xfffe
	v_and_or_b32 v0, 0x7fffff8, s3, v1
	v_lshl_or_b32 v1, v17, 2, v18
	ds_store_b32 v1, v6
	s_wait_loadcnt_dscnt 0x0
	global_inv scope:SCOPE_SE
	s_wait_kmcnt 0x0
	v_cmp_gt_i32_e32 vcc_lo, s2, v0
	s_and_saveexec_b32 s2, vcc_lo
	s_cbranch_execz .LBB14_78
; %bb.7:
	s_load_b512 s[4:19], s[0:1], 0x8
	v_lshlrev_b32_e32 v0, 2, v0
	v_lshlrev_b32_e32 v19, 2, v10
	s_mov_b32 s2, exec_lo
	s_wait_kmcnt 0x0
	global_load_b32 v6, v0, s[14:15]
	s_wait_loadcnt 0x0
	v_ashrrev_i32_e32 v7, 31, v6
	s_delay_alu instid0(VALU_DEP_1) | instskip(NEXT) | instid1(VALU_DEP_1)
	v_lshlrev_b64_e32 v[0:1], 2, v[6:7]
	v_add_co_u32 v7, vcc_lo, s4, v0
	s_delay_alu instid0(VALU_DEP_1)
	v_add_co_ci_u32_e64 v8, null, s5, v1, vcc_lo
	v_add_co_u32 v11, vcc_lo, s10, v0
	s_wait_alu 0xfffd
	v_add_co_ci_u32_e64 v12, null, s11, v1, vcc_lo
	global_load_b64 v[8:9], v[7:8], off
	global_load_b32 v7, v[11:12], off
	s_wait_loadcnt 0x1
	v_subrev_nc_u32_e32 v8, s28, v8
	v_subrev_nc_u32_e32 v11, s28, v9
	s_delay_alu instid0(VALU_DEP_2) | instskip(NEXT) | instid1(VALU_DEP_1)
	v_add_nc_u32_e32 v9, v8, v17
	v_cmpx_lt_i32_e64 v9, v11
	s_cbranch_execz .LBB14_30
; %bb.8:
	v_mov_b32_e32 v12, -1
	s_mov_b32 s3, 0
	s_branch .LBB14_10
.LBB14_9:                               ;   in Loop: Header=BB14_10 Depth=1
	s_or_b32 exec_lo, exec_lo, s14
	v_add_nc_u32_e32 v9, 32, v9
	s_delay_alu instid0(VALU_DEP_1)
	v_cmp_ge_i32_e32 vcc_lo, v9, v11
	s_or_b32 s3, vcc_lo, s3
	s_wait_alu 0xfffe
	s_and_not1_b32 exec_lo, exec_lo, s3
	s_cbranch_execz .LBB14_30
.LBB14_10:                              ; =>This Loop Header: Depth=1
                                        ;     Child Loop BB14_19 Depth 2
	v_ashrrev_i32_e32 v10, 31, v9
	s_mov_b32 s14, 0
                                        ; implicit-def: $sgpr15
                                        ; implicit-def: $sgpr22
                                        ; implicit-def: $sgpr23
	s_delay_alu instid0(VALU_DEP_1) | instskip(NEXT) | instid1(VALU_DEP_1)
	v_lshlrev_b64_e32 v[13:14], 2, v[9:10]
	v_add_co_u32 v13, vcc_lo, s6, v13
	s_wait_alu 0xfffd
	s_delay_alu instid0(VALU_DEP_2)
	v_add_co_ci_u32_e64 v14, null, s7, v14, vcc_lo
	global_load_b32 v10, v[13:14], off
	v_mov_b32_e32 v13, 32
	s_wait_loadcnt 0x0
	v_mul_lo_u32 v15, v10, 7
	s_branch .LBB14_19
.LBB14_11:                              ;   in Loop: Header=BB14_19 Depth=2
	s_or_b32 exec_lo, exec_lo, s37
	s_delay_alu instid0(SALU_CYCLE_1)
	s_or_not1_b32 s35, s35, exec_lo
	s_or_not1_b32 s36, s36, exec_lo
.LBB14_12:                              ;   in Loop: Header=BB14_19 Depth=2
	s_or_b32 exec_lo, exec_lo, s34
	s_delay_alu instid0(SALU_CYCLE_1)
	s_and_b32 s35, s35, exec_lo
	s_or_not1_b32 s34, s36, exec_lo
.LBB14_13:                              ;   in Loop: Header=BB14_19 Depth=2
	s_or_b32 exec_lo, exec_lo, s33
	s_delay_alu instid0(SALU_CYCLE_1)
	s_or_not1_b32 s33, s35, exec_lo
	s_or_not1_b32 s34, s34, exec_lo
.LBB14_14:                              ;   in Loop: Header=BB14_19 Depth=2
	s_or_b32 exec_lo, exec_lo, s31
	s_delay_alu instid0(SALU_CYCLE_1)
	s_and_b32 s33, s33, exec_lo
	s_or_not1_b32 s31, s34, exec_lo
.LBB14_15:                              ;   in Loop: Header=BB14_19 Depth=2
	s_wait_alu 0xfffe
	s_or_b32 exec_lo, exec_lo, s27
	s_delay_alu instid0(SALU_CYCLE_1)
	s_or_not1_b32 s27, s33, exec_lo
	s_or_not1_b32 s31, s31, exec_lo
.LBB14_16:                              ;   in Loop: Header=BB14_19 Depth=2
	s_wait_alu 0xfffe
	s_or_b32 exec_lo, exec_lo, s26
	s_delay_alu instid0(SALU_CYCLE_1)
	s_and_b32 s27, s27, exec_lo
	s_or_not1_b32 s26, s31, exec_lo
.LBB14_17:                              ;   in Loop: Header=BB14_19 Depth=2
	s_wait_alu 0xfffe
	s_or_b32 exec_lo, exec_lo, s25
	s_delay_alu instid0(SALU_CYCLE_1)
	s_and_not1_b32 s23, s23, exec_lo
	s_and_b32 s25, s27, exec_lo
	s_and_not1_b32 s22, s22, exec_lo
	s_and_b32 s26, s26, exec_lo
	s_wait_alu 0xfffe
	s_or_b32 s23, s23, s25
	s_or_b32 s22, s22, s26
.LBB14_18:                              ;   in Loop: Header=BB14_19 Depth=2
	s_wait_alu 0xfffe
	s_or_b32 exec_lo, exec_lo, s24
	s_delay_alu instid0(SALU_CYCLE_1)
	s_and_b32 s24, exec_lo, s22
	s_wait_alu 0xfffe
	s_or_b32 s14, s24, s14
	s_and_not1_b32 s15, s15, exec_lo
	s_and_b32 s24, s23, exec_lo
	s_wait_alu 0xfffe
	s_or_b32 s15, s15, s24
	s_and_not1_b32 exec_lo, exec_lo, s14
	s_cbranch_execz .LBB14_28
.LBB14_19:                              ;   Parent Loop BB14_10 Depth=1
                                        ; =>  This Inner Loop Header: Depth=2
	s_delay_alu instid0(VALU_DEP_1) | instskip(SKIP_3) | instid1(VALU_DEP_1)
	v_and_b32_e32 v14, 31, v15
	s_or_b32 s23, s23, exec_lo
	s_or_b32 s22, s22, exec_lo
	s_mov_b32 s24, exec_lo
	v_lshl_add_u32 v16, v14, 2, v18
	ds_load_b32 v20, v16
	s_wait_dscnt 0x0
	v_cmpx_ne_u32_e64 v20, v10
	s_cbranch_execz .LBB14_18
; %bb.20:                               ;   in Loop: Header=BB14_19 Depth=2
	ds_cmpstore_rtn_b32 v16, v16, v10, v12
	s_mov_b32 s26, -1
	s_mov_b32 s27, 0
	s_mov_b32 s25, exec_lo
	s_wait_dscnt 0x0
	v_cmpx_ne_u32_e32 -1, v16
	s_cbranch_execz .LBB14_17
; %bb.21:                               ;   in Loop: Header=BB14_19 Depth=2
	v_add_nc_u32_e32 v14, 1, v15
	s_mov_b32 s31, -1
	s_mov_b32 s27, -1
	s_mov_b32 s26, exec_lo
	s_delay_alu instid0(VALU_DEP_1) | instskip(NEXT) | instid1(VALU_DEP_1)
	v_and_b32_e32 v14, 31, v14
	v_lshl_add_u32 v16, v14, 2, v18
	ds_load_b32 v20, v16
	s_wait_dscnt 0x0
	v_cmpx_ne_u32_e64 v20, v10
	s_cbranch_execz .LBB14_16
; %bb.22:                               ;   in Loop: Header=BB14_19 Depth=2
	ds_cmpstore_rtn_b32 v16, v16, v10, v12
	s_mov_b32 s33, 0
	s_mov_b32 s27, exec_lo
	s_wait_dscnt 0x0
	v_cmpx_ne_u32_e32 -1, v16
	s_cbranch_execz .LBB14_15
; %bb.23:                               ;   in Loop: Header=BB14_19 Depth=2
	v_add_nc_u32_e32 v14, 2, v15
	s_mov_b32 s34, -1
	s_mov_b32 s33, -1
	s_mov_b32 s31, exec_lo
	s_delay_alu instid0(VALU_DEP_1) | instskip(NEXT) | instid1(VALU_DEP_1)
	v_and_b32_e32 v14, 31, v14
	v_lshl_add_u32 v16, v14, 2, v18
	ds_load_b32 v20, v16
	s_wait_dscnt 0x0
	v_cmpx_ne_u32_e64 v20, v10
	s_cbranch_execz .LBB14_14
; %bb.24:                               ;   in Loop: Header=BB14_19 Depth=2
	ds_cmpstore_rtn_b32 v16, v16, v10, v12
	s_mov_b32 s35, 0
	s_mov_b32 s33, exec_lo
	s_wait_dscnt 0x0
	v_cmpx_ne_u32_e32 -1, v16
	s_cbranch_execz .LBB14_13
; %bb.25:                               ;   in Loop: Header=BB14_19 Depth=2
	v_add_nc_u32_e32 v14, 3, v15
	s_mov_b32 s36, -1
	s_mov_b32 s35, -1
	s_delay_alu instid0(VALU_DEP_1) | instskip(NEXT) | instid1(VALU_DEP_1)
	v_and_b32_e32 v14, 31, v14
	v_lshl_add_u32 v16, v14, 2, v18
	ds_load_b32 v15, v16
	s_wait_dscnt 0x0
	v_cmp_ne_u32_e32 vcc_lo, v15, v10
                                        ; implicit-def: $vgpr15
	s_and_saveexec_b32 s34, vcc_lo
	s_cbranch_execz .LBB14_12
; %bb.26:                               ;   in Loop: Header=BB14_19 Depth=2
	ds_cmpstore_rtn_b32 v15, v16, v10, v12
	s_mov_b32 s35, 0
	s_wait_dscnt 0x0
	v_cmp_ne_u32_e32 vcc_lo, -1, v15
                                        ; implicit-def: $vgpr15
	s_and_saveexec_b32 s37, vcc_lo
	s_cbranch_execz .LBB14_11
; %bb.27:                               ;   in Loop: Header=BB14_19 Depth=2
	v_add_nc_u32_e32 v13, -4, v13
	v_add_nc_u32_e32 v15, 1, v14
	s_mov_b32 s35, exec_lo
	s_delay_alu instid0(VALU_DEP_2)
	v_cmp_eq_u32_e32 vcc_lo, 0, v13
	s_or_not1_b32 s36, vcc_lo, exec_lo
	s_branch .LBB14_11
.LBB14_28:                              ;   in Loop: Header=BB14_10 Depth=1
	s_or_b32 exec_lo, exec_lo, s14
	s_xor_b32 s14, s15, -1
	s_delay_alu instid0(SALU_CYCLE_1) | instskip(NEXT) | instid1(SALU_CYCLE_1)
	s_and_saveexec_b32 s15, s14
	s_xor_b32 s14, exec_lo, s15
	s_cbranch_execz .LBB14_9
; %bb.29:                               ;   in Loop: Header=BB14_10 Depth=1
	v_lshl_add_u32 v10, v14, 2, v19
	ds_store_b32 v10, v9
	s_branch .LBB14_9
.LBB14_30:
	s_wait_alu 0xfffe
	s_or_b32 exec_lo, exec_lo, s2
	s_delay_alu instid0(SALU_CYCLE_1)
	s_mov_b32 s2, exec_lo
	s_wait_loadcnt_dscnt 0x0
	global_inv scope:SCOPE_SE
	v_cmpx_lt_i32_e64 v8, v7
	s_cbranch_execz .LBB14_60
; %bb.31:
	v_add_nc_u32_e32 v20, 1, v17
	s_mov_b32 s3, 0
	s_branch .LBB14_34
.LBB14_32:                              ;   in Loop: Header=BB14_34 Depth=1
	s_or_b32 exec_lo, exec_lo, s15
	v_add_nc_u32_e32 v8, 1, v8
	s_delay_alu instid0(VALU_DEP_1)
	v_cmp_ge_i32_e32 vcc_lo, v8, v7
	s_or_not1_b32 s15, vcc_lo, exec_lo
.LBB14_33:                              ;   in Loop: Header=BB14_34 Depth=1
	s_or_b32 exec_lo, exec_lo, s14
	s_delay_alu instid0(SALU_CYCLE_1)
	s_and_b32 s14, exec_lo, s15
	s_wait_alu 0xfffe
	s_or_b32 s3, s14, s3
	s_wait_alu 0xfffe
	s_and_not1_b32 exec_lo, exec_lo, s3
	s_cbranch_execz .LBB14_60
.LBB14_34:                              ; =>This Loop Header: Depth=1
                                        ;     Child Loop BB14_35 Depth 2
                                        ;     Child Loop BB14_40 Depth 2
                                        ;       Child Loop BB14_49 Depth 3
	v_ashrrev_i32_e32 v9, 31, v8
	s_mov_b32 s14, 0
	s_delay_alu instid0(VALU_DEP_1) | instskip(SKIP_1) | instid1(VALU_DEP_2)
	v_lshlrev_b64_e32 v[10:11], 2, v[8:9]
	v_lshlrev_b64_e32 v[12:13], 3, v[8:9]
	v_add_co_u32 v10, vcc_lo, s6, v10
	s_wait_alu 0xfffd
	s_delay_alu instid0(VALU_DEP_3) | instskip(NEXT) | instid1(VALU_DEP_3)
	v_add_co_ci_u32_e64 v11, null, s7, v11, vcc_lo
	v_add_co_u32 v12, vcc_lo, s8, v12
	s_wait_alu 0xfffd
	v_add_co_ci_u32_e64 v13, null, s9, v13, vcc_lo
	global_load_b32 v10, v[10:11], off
	s_wait_loadcnt 0x0
	v_subrev_nc_u32_e32 v10, s28, v10
	s_delay_alu instid0(VALU_DEP_1) | instskip(NEXT) | instid1(VALU_DEP_1)
	v_ashrrev_i32_e32 v11, 31, v10
	v_lshlrev_b64_e32 v[14:15], 2, v[10:11]
	s_delay_alu instid0(VALU_DEP_1) | instskip(SKIP_1) | instid1(VALU_DEP_2)
	v_add_co_u32 v21, vcc_lo, s4, v14
	s_wait_alu 0xfffd
	v_add_co_ci_u32_e64 v22, null, s5, v15, vcc_lo
	v_add_co_u32 v23, vcc_lo, s10, v14
	s_wait_alu 0xfffd
	v_add_co_ci_u32_e64 v24, null, s11, v15, vcc_lo
	global_load_b64 v[9:10], v[12:13], off
	global_load_b32 v11, v[21:22], off offset:4
	global_load_b32 v16, v[23:24], off
	v_add_co_u32 v14, vcc_lo, s12, v14
	s_wait_alu 0xfffd
	v_add_co_ci_u32_e64 v15, null, s13, v15, vcc_lo
.LBB14_35:                              ;   Parent Loop BB14_34 Depth=1
                                        ; =>  This Inner Loop Header: Depth=2
	global_load_b32 v21, v[14:15], off scope:SCOPE_DEV
	s_wait_loadcnt 0x0
	v_cmp_ne_u32_e32 vcc_lo, 0, v21
	s_or_b32 s14, vcc_lo, s14
	s_delay_alu instid0(SALU_CYCLE_1)
	s_and_not1_b32 exec_lo, exec_lo, s14
	s_cbranch_execnz .LBB14_35
; %bb.36:                               ;   in Loop: Header=BB14_34 Depth=1
	s_or_b32 exec_lo, exec_lo, s14
	v_subrev_nc_u32_e32 v21, s28, v11
	v_cmp_eq_u32_e32 vcc_lo, -1, v16
	global_inv scope:SCOPE_DEV
	s_mov_b32 s15, -1
	s_mov_b32 s14, exec_lo
	v_add_nc_u32_e32 v11, -1, v21
	s_wait_alu 0xfffd
	s_delay_alu instid0(VALU_DEP_1) | instskip(NEXT) | instid1(VALU_DEP_1)
	v_cndmask_b32_e32 v14, v16, v11, vcc_lo
	v_ashrrev_i32_e32 v15, 31, v14
	s_delay_alu instid0(VALU_DEP_1) | instskip(NEXT) | instid1(VALU_DEP_1)
	v_lshlrev_b64_e32 v[15:16], 3, v[14:15]
	v_add_co_u32 v15, vcc_lo, s8, v15
	s_wait_alu 0xfffd
	s_delay_alu instid0(VALU_DEP_2)
	v_add_co_ci_u32_e64 v16, null, s9, v16, vcc_lo
	global_load_b64 v[15:16], v[15:16], off
	s_wait_loadcnt 0x0
	v_cmpx_neq_f64_e32 0, v[15:16]
	s_cbranch_execz .LBB14_33
; %bb.37:                               ;   in Loop: Header=BB14_34 Depth=1
	v_div_scale_f64 v[22:23], null, v[15:16], v[15:16], v[9:10]
	v_add_nc_u32_e32 v11, v20, v14
	s_mov_b32 s15, exec_lo
	s_delay_alu instid0(VALU_DEP_2) | instskip(NEXT) | instid1(TRANS32_DEP_1)
	v_rcp_f64_e32 v[24:25], v[22:23]
	v_fma_f64 v[26:27], -v[22:23], v[24:25], 1.0
	s_delay_alu instid0(VALU_DEP_1) | instskip(NEXT) | instid1(VALU_DEP_1)
	v_fma_f64 v[24:25], v[24:25], v[26:27], v[24:25]
	v_fma_f64 v[26:27], -v[22:23], v[24:25], 1.0
	s_delay_alu instid0(VALU_DEP_1) | instskip(SKIP_1) | instid1(VALU_DEP_1)
	v_fma_f64 v[24:25], v[24:25], v[26:27], v[24:25]
	v_div_scale_f64 v[26:27], vcc_lo, v[9:10], v[15:16], v[9:10]
	v_mul_f64_e32 v[28:29], v[26:27], v[24:25]
	s_delay_alu instid0(VALU_DEP_1) | instskip(SKIP_1) | instid1(VALU_DEP_1)
	v_fma_f64 v[22:23], -v[22:23], v[28:29], v[26:27]
	s_wait_alu 0xfffd
	v_div_fmas_f64 v[22:23], v[22:23], v[24:25], v[28:29]
	s_delay_alu instid0(VALU_DEP_1)
	v_div_fixup_f64 v[9:10], v[22:23], v[15:16], v[9:10]
	global_store_b64 v[12:13], v[9:10], off
	v_cmpx_lt_i32_e64 v11, v21
	s_cbranch_execz .LBB14_32
; %bb.38:                               ;   in Loop: Header=BB14_34 Depth=1
	s_mov_b32 s22, 0
	s_branch .LBB14_40
.LBB14_39:                              ;   in Loop: Header=BB14_40 Depth=2
	s_or_b32 exec_lo, exec_lo, s23
	v_add_nc_u32_e32 v11, 32, v11
	s_delay_alu instid0(VALU_DEP_1) | instskip(SKIP_1) | instid1(SALU_CYCLE_1)
	v_cmp_ge_i32_e32 vcc_lo, v11, v21
	s_or_b32 s22, vcc_lo, s22
	s_and_not1_b32 exec_lo, exec_lo, s22
	s_cbranch_execz .LBB14_32
.LBB14_40:                              ;   Parent Loop BB14_34 Depth=1
                                        ; =>  This Loop Header: Depth=2
                                        ;       Child Loop BB14_49 Depth 3
	v_ashrrev_i32_e32 v12, 31, v11
	s_mov_b32 s23, 0
                                        ; implicit-def: $sgpr24
                                        ; implicit-def: $sgpr25
                                        ; implicit-def: $sgpr26
	s_delay_alu instid0(VALU_DEP_1) | instskip(NEXT) | instid1(VALU_DEP_1)
	v_lshlrev_b64_e32 v[13:14], 2, v[11:12]
	v_add_co_u32 v13, vcc_lo, s6, v13
	s_wait_alu 0xfffd
	s_delay_alu instid0(VALU_DEP_2)
	v_add_co_ci_u32_e64 v14, null, s7, v14, vcc_lo
	global_load_b32 v13, v[13:14], off
	v_mov_b32_e32 v14, 32
	s_wait_loadcnt 0x0
	v_mul_lo_u32 v16, v13, 7
	s_branch .LBB14_49
.LBB14_41:                              ;   in Loop: Header=BB14_49 Depth=3
	s_or_b32 exec_lo, exec_lo, s40
	s_delay_alu instid0(SALU_CYCLE_1)
	s_or_not1_b32 s38, s38, exec_lo
	s_or_not1_b32 s39, s39, exec_lo
.LBB14_42:                              ;   in Loop: Header=BB14_49 Depth=3
	s_or_b32 exec_lo, exec_lo, s37
	s_delay_alu instid0(SALU_CYCLE_1)
	s_and_b32 s38, s38, exec_lo
	s_or_not1_b32 s37, s39, exec_lo
.LBB14_43:                              ;   in Loop: Header=BB14_49 Depth=3
	s_or_b32 exec_lo, exec_lo, s36
	s_delay_alu instid0(SALU_CYCLE_1)
	s_or_not1_b32 s36, s38, exec_lo
	s_or_not1_b32 s37, s37, exec_lo
.LBB14_44:                              ;   in Loop: Header=BB14_49 Depth=3
	s_or_b32 exec_lo, exec_lo, s35
	s_delay_alu instid0(SALU_CYCLE_1)
	s_and_b32 s36, s36, exec_lo
	s_or_not1_b32 s35, s37, exec_lo
.LBB14_45:                              ;   in Loop: Header=BB14_49 Depth=3
	s_or_b32 exec_lo, exec_lo, s34
	s_delay_alu instid0(SALU_CYCLE_1)
	s_or_not1_b32 s34, s36, exec_lo
	s_or_not1_b32 s35, s35, exec_lo
.LBB14_46:                              ;   in Loop: Header=BB14_49 Depth=3
	s_or_b32 exec_lo, exec_lo, s33
	s_delay_alu instid0(SALU_CYCLE_1)
	s_and_b32 s34, s34, exec_lo
	s_or_not1_b32 s33, s35, exec_lo
.LBB14_47:                              ;   in Loop: Header=BB14_49 Depth=3
	s_or_b32 exec_lo, exec_lo, s31
	s_wait_alu 0xfffe
	s_and_not1_b32 s26, s26, exec_lo
	s_and_b32 s31, s34, exec_lo
	s_and_not1_b32 s25, s25, exec_lo
	s_and_b32 s33, s33, exec_lo
	s_wait_alu 0xfffe
	s_or_b32 s26, s26, s31
	s_or_b32 s25, s25, s33
.LBB14_48:                              ;   in Loop: Header=BB14_49 Depth=3
	s_wait_alu 0xfffe
	s_or_b32 exec_lo, exec_lo, s27
	s_delay_alu instid0(SALU_CYCLE_1)
	s_and_b32 s27, exec_lo, s25
	s_wait_alu 0xfffe
	s_or_b32 s23, s27, s23
	s_and_not1_b32 s24, s24, exec_lo
	s_and_b32 s27, s26, exec_lo
	s_wait_alu 0xfffe
	s_or_b32 s24, s24, s27
	s_and_not1_b32 exec_lo, exec_lo, s23
	s_cbranch_execz .LBB14_58
.LBB14_49:                              ;   Parent Loop BB14_34 Depth=1
                                        ;     Parent Loop BB14_40 Depth=2
                                        ; =>    This Inner Loop Header: Depth=3
	s_delay_alu instid0(VALU_DEP_1) | instskip(SKIP_3) | instid1(VALU_DEP_1)
	v_and_b32_e32 v15, 31, v16
	s_or_b32 s26, s26, exec_lo
	s_or_b32 s25, s25, exec_lo
	s_mov_b32 s27, exec_lo
	v_lshl_add_u32 v22, v15, 2, v18
	ds_load_b32 v22, v22
	s_wait_dscnt 0x0
	v_cmpx_ne_u32_e32 -1, v22
	s_cbranch_execz .LBB14_48
; %bb.50:                               ;   in Loop: Header=BB14_49 Depth=3
	s_mov_b32 s33, -1
	s_mov_b32 s34, 0
	s_mov_b32 s31, exec_lo
	v_cmpx_ne_u32_e64 v22, v13
	s_cbranch_execz .LBB14_47
; %bb.51:                               ;   in Loop: Header=BB14_49 Depth=3
	v_add_nc_u32_e32 v15, 1, v16
	s_mov_b32 s35, -1
	s_mov_b32 s34, -1
	s_mov_b32 s33, exec_lo
	s_delay_alu instid0(VALU_DEP_1) | instskip(NEXT) | instid1(VALU_DEP_1)
	v_and_b32_e32 v15, 31, v15
	v_lshl_add_u32 v22, v15, 2, v18
	ds_load_b32 v22, v22
	s_wait_dscnt 0x0
	v_cmpx_ne_u32_e32 -1, v22
	s_cbranch_execz .LBB14_46
; %bb.52:                               ;   in Loop: Header=BB14_49 Depth=3
	s_mov_b32 s36, 0
	s_mov_b32 s34, exec_lo
	v_cmpx_ne_u32_e64 v22, v13
	s_cbranch_execz .LBB14_45
; %bb.53:                               ;   in Loop: Header=BB14_49 Depth=3
	v_add_nc_u32_e32 v15, 2, v16
	s_mov_b32 s37, -1
	s_mov_b32 s36, -1
	s_mov_b32 s35, exec_lo
	s_delay_alu instid0(VALU_DEP_1) | instskip(NEXT) | instid1(VALU_DEP_1)
	v_and_b32_e32 v15, 31, v15
	v_lshl_add_u32 v22, v15, 2, v18
	ds_load_b32 v22, v22
	s_wait_dscnt 0x0
	v_cmpx_ne_u32_e32 -1, v22
	s_cbranch_execz .LBB14_44
; %bb.54:                               ;   in Loop: Header=BB14_49 Depth=3
	s_mov_b32 s38, 0
	s_mov_b32 s36, exec_lo
	v_cmpx_ne_u32_e64 v22, v13
	s_cbranch_execz .LBB14_43
; %bb.55:                               ;   in Loop: Header=BB14_49 Depth=3
	v_add_nc_u32_e32 v15, 3, v16
	s_mov_b32 s39, -1
	s_mov_b32 s38, -1
	s_mov_b32 s37, exec_lo
	s_delay_alu instid0(VALU_DEP_1) | instskip(NEXT) | instid1(VALU_DEP_1)
	v_and_b32_e32 v15, 31, v15
	v_lshl_add_u32 v16, v15, 2, v18
	ds_load_b32 v22, v16
                                        ; implicit-def: $vgpr16
	s_wait_dscnt 0x0
	v_cmpx_ne_u32_e32 -1, v22
	s_cbranch_execz .LBB14_42
; %bb.56:                               ;   in Loop: Header=BB14_49 Depth=3
	s_mov_b32 s38, 0
	s_mov_b32 s40, exec_lo
                                        ; implicit-def: $vgpr16
	v_cmpx_ne_u32_e64 v22, v13
	s_cbranch_execz .LBB14_41
; %bb.57:                               ;   in Loop: Header=BB14_49 Depth=3
	v_add_nc_u32_e32 v14, -4, v14
	v_add_nc_u32_e32 v16, 1, v15
	s_mov_b32 s38, exec_lo
	s_delay_alu instid0(VALU_DEP_2)
	v_cmp_eq_u32_e32 vcc_lo, 0, v14
	s_or_not1_b32 s39, vcc_lo, exec_lo
	s_branch .LBB14_41
.LBB14_58:                              ;   in Loop: Header=BB14_40 Depth=2
	s_or_b32 exec_lo, exec_lo, s23
	s_wait_alu 0xfffe
	s_xor_b32 s23, s24, -1
	s_delay_alu instid0(SALU_CYCLE_1)
	s_and_saveexec_b32 s24, s23
	s_wait_alu 0xfffe
	s_xor_b32 s23, exec_lo, s24
	s_cbranch_execz .LBB14_39
; %bb.59:                               ;   in Loop: Header=BB14_40 Depth=2
	v_lshl_add_u32 v13, v15, 2, v19
	v_lshlrev_b64_e32 v[15:16], 3, v[11:12]
	ds_load_b32 v13, v13
	s_wait_dscnt 0x0
	v_ashrrev_i32_e32 v14, 31, v13
	s_delay_alu instid0(VALU_DEP_1) | instskip(SKIP_3) | instid1(VALU_DEP_3)
	v_lshlrev_b64_e32 v[12:13], 3, v[13:14]
	v_add_co_u32 v14, vcc_lo, s8, v15
	s_wait_alu 0xfffd
	v_add_co_ci_u32_e64 v15, null, s9, v16, vcc_lo
	v_add_co_u32 v12, vcc_lo, s8, v12
	s_wait_alu 0xfffd
	v_add_co_ci_u32_e64 v13, null, s9, v13, vcc_lo
	s_clause 0x1
	global_load_b64 v[14:15], v[14:15], off
	global_load_b64 v[22:23], v[12:13], off
	s_wait_loadcnt 0x0
	v_fma_f64 v[14:15], -v[9:10], v[14:15], v[22:23]
	global_store_b64 v[12:13], v[14:15], off
	s_branch .LBB14_39
.LBB14_60:
	s_wait_alu 0xfffe
	s_or_b32 exec_lo, exec_lo, s2
	s_mov_b32 s4, -1
	s_mov_b32 s3, exec_lo
	s_wait_loadcnt 0x0
	s_wait_storecnt 0x0
	global_inv scope:SCOPE_SE
	v_cmpx_lt_i32_e32 -1, v7
	s_cbranch_execz .LBB14_76
; %bb.61:
	v_mov_b32_e32 v8, 0
	v_cmp_eq_u32_e64 s2, 0, v17
	s_delay_alu instid0(VALU_DEP_2) | instskip(NEXT) | instid1(VALU_DEP_1)
	v_lshlrev_b64_e32 v[7:8], 3, v[7:8]
	v_add_co_u32 v11, vcc_lo, s8, v7
	s_wait_alu 0xfffd
	s_delay_alu instid0(VALU_DEP_2)
	v_add_co_ci_u32_e64 v12, null, s9, v8, vcc_lo
	global_load_b64 v[7:8], v[11:12], off
	s_wait_loadcnt 0x0
	v_cmp_gt_f64_e32 vcc_lo, 0, v[7:8]
	v_xor_b32_e32 v10, 0x80000000, v8
	s_wait_alu 0xfffd
	s_delay_alu instid0(VALU_DEP_1)
	v_dual_mov_b32 v9, v7 :: v_dual_cndmask_b32 v10, v8, v10
	s_and_not1_b32 vcc_lo, exec_lo, s29
	s_wait_alu 0xfffe
	s_cbranch_vccnz .LBB14_65
; %bb.62:
	v_cvt_f64_f32_e32 v[13:14], s30
	s_cmp_eq_u64 s[20:21], 8
	s_cselect_b32 vcc_lo, -1, 0
	s_wait_alu 0xfffe
	s_delay_alu instid0(VALU_DEP_1) | instskip(NEXT) | instid1(VALU_DEP_1)
	v_dual_cndmask_b32 v3, v14, v3 :: v_dual_cndmask_b32 v2, v13, v2
	v_cmp_le_f64_e32 vcc_lo, v[9:10], v[2:3]
	s_and_b32 s5, s2, vcc_lo
	s_wait_alu 0xfffe
	s_and_saveexec_b32 s4, s5
	s_cbranch_execz .LBB14_64
; %bb.63:
	global_store_b64 v[11:12], v[4:5], off
	s_wait_storecnt 0x0
	global_inv scope:SCOPE_DEV
.LBB14_64:
	s_wait_alu 0xfffe
	s_or_b32 exec_lo, exec_lo, s4
	s_mov_b32 s4, 0
.LBB14_65:
	s_wait_alu 0xfffe
	s_and_not1_b32 vcc_lo, exec_lo, s4
	s_wait_alu 0xfffe
	s_cbranch_vccnz .LBB14_76
; %bb.66:
	s_load_b64 s[0:1], s[0:1], 0x48
	v_add_nc_u32_e32 v2, s28, v6
	s_wait_kmcnt 0x0
	v_cmp_ge_f64_e32 vcc_lo, s[0:1], v[9:10]
	s_and_b32 s1, s2, vcc_lo
	s_wait_alu 0xfffe
	s_and_saveexec_b32 s0, s1
	s_cbranch_execz .LBB14_71
; %bb.67:
	s_mov_b32 s4, exec_lo
	s_brev_b32 s1, -2
.LBB14_68:                              ; =>This Inner Loop Header: Depth=1
	s_wait_alu 0xfffe
	s_ctz_i32_b32 s5, s4
	s_wait_alu 0xfffe
	v_readlane_b32 s6, v2, s5
	s_lshl_b32 s5, 1, s5
	s_wait_alu 0xfffe
	s_and_not1_b32 s4, s4, s5
	s_min_i32 s1, s1, s6
	s_wait_alu 0xfffe
	s_cmp_lg_u32 s4, 0
	s_cbranch_scc1 .LBB14_68
; %bb.69:
	v_mbcnt_lo_u32_b32 v3, exec_lo, 0
	s_mov_b32 s4, exec_lo
	s_delay_alu instid0(VALU_DEP_1)
	v_cmpx_eq_u32_e32 0, v3
	s_wait_alu 0xfffe
	s_xor_b32 s4, exec_lo, s4
	s_cbranch_execz .LBB14_71
; %bb.70:
	v_dual_mov_b32 v3, 0 :: v_dual_mov_b32 v4, s1
	global_atomic_min_i32 v3, v4, s[18:19] scope:SCOPE_DEV
.LBB14_71:
	s_wait_alu 0xfffe
	s_or_b32 exec_lo, exec_lo, s0
	v_cmp_eq_f64_e32 vcc_lo, 0, v[7:8]
	s_and_b32 s0, s2, vcc_lo
	s_wait_alu 0xfffe
	s_and_b32 exec_lo, exec_lo, s0
	s_cbranch_execz .LBB14_76
; %bb.72:
	s_mov_b32 s1, exec_lo
	s_brev_b32 s0, -2
.LBB14_73:                              ; =>This Inner Loop Header: Depth=1
	s_wait_alu 0xfffe
	s_ctz_i32_b32 s2, s1
	s_wait_alu 0xfffe
	v_readlane_b32 s4, v2, s2
	s_lshl_b32 s2, 1, s2
	s_wait_alu 0xfffe
	s_and_not1_b32 s1, s1, s2
	s_min_i32 s0, s0, s4
	s_wait_alu 0xfffe
	s_cmp_lg_u32 s1, 0
	s_cbranch_scc1 .LBB14_73
; %bb.74:
	v_mbcnt_lo_u32_b32 v2, exec_lo, 0
	s_mov_b32 s1, exec_lo
	s_delay_alu instid0(VALU_DEP_1)
	v_cmpx_eq_u32_e32 0, v2
	s_wait_alu 0xfffe
	s_xor_b32 s1, exec_lo, s1
	s_cbranch_execz .LBB14_76
; %bb.75:
	v_dual_mov_b32 v2, 0 :: v_dual_mov_b32 v3, s0
	global_atomic_min_i32 v2, v3, s[16:17] scope:SCOPE_DEV
.LBB14_76:
	s_wait_alu 0xfffe
	s_or_b32 exec_lo, exec_lo, s3
	v_cmp_eq_u32_e32 vcc_lo, 0, v17
	s_wait_loadcnt 0x0
	s_wait_storecnt 0x0
	global_inv scope:SCOPE_DEV
	s_and_b32 exec_lo, exec_lo, vcc_lo
	s_cbranch_execz .LBB14_78
; %bb.77:
	v_add_co_u32 v0, vcc_lo, s12, v0
	s_wait_alu 0xfffd
	v_add_co_ci_u32_e64 v1, null, s13, v1, vcc_lo
	v_mov_b32_e32 v2, 1
	s_wait_loadcnt 0x0
	global_store_b32 v[0:1], v2, off scope:SCOPE_DEV
.LBB14_78:
	s_endpgm
	.section	.rodata,"a",@progbits
	.p2align	6, 0x0
	.amdhsa_kernel _ZN9rocsparseL12csrilu0_hashILj256ELj32ELj1EdEEviPKiS2_PT2_S2_PiS2_S5_S5_d21rocsparse_index_base_imNS_24const_host_device_scalarIfEENS7_IdEENS7_IS3_EEb
		.amdhsa_group_segment_fixed_size 2048
		.amdhsa_private_segment_fixed_size 0
		.amdhsa_kernarg_size 124
		.amdhsa_user_sgpr_count 2
		.amdhsa_user_sgpr_dispatch_ptr 0
		.amdhsa_user_sgpr_queue_ptr 0
		.amdhsa_user_sgpr_kernarg_segment_ptr 1
		.amdhsa_user_sgpr_dispatch_id 0
		.amdhsa_user_sgpr_private_segment_size 0
		.amdhsa_wavefront_size32 1
		.amdhsa_uses_dynamic_stack 0
		.amdhsa_enable_private_segment 0
		.amdhsa_system_sgpr_workgroup_id_x 1
		.amdhsa_system_sgpr_workgroup_id_y 0
		.amdhsa_system_sgpr_workgroup_id_z 0
		.amdhsa_system_sgpr_workgroup_info 0
		.amdhsa_system_vgpr_workitem_id 0
		.amdhsa_next_free_vgpr 30
		.amdhsa_next_free_sgpr 41
		.amdhsa_reserve_vcc 1
		.amdhsa_float_round_mode_32 0
		.amdhsa_float_round_mode_16_64 0
		.amdhsa_float_denorm_mode_32 3
		.amdhsa_float_denorm_mode_16_64 3
		.amdhsa_fp16_overflow 0
		.amdhsa_workgroup_processor_mode 1
		.amdhsa_memory_ordered 1
		.amdhsa_forward_progress 1
		.amdhsa_inst_pref_size 25
		.amdhsa_round_robin_scheduling 0
		.amdhsa_exception_fp_ieee_invalid_op 0
		.amdhsa_exception_fp_denorm_src 0
		.amdhsa_exception_fp_ieee_div_zero 0
		.amdhsa_exception_fp_ieee_overflow 0
		.amdhsa_exception_fp_ieee_underflow 0
		.amdhsa_exception_fp_ieee_inexact 0
		.amdhsa_exception_int_div_zero 0
	.end_amdhsa_kernel
	.section	.text._ZN9rocsparseL12csrilu0_hashILj256ELj32ELj1EdEEviPKiS2_PT2_S2_PiS2_S5_S5_d21rocsparse_index_base_imNS_24const_host_device_scalarIfEENS7_IdEENS7_IS3_EEb,"axG",@progbits,_ZN9rocsparseL12csrilu0_hashILj256ELj32ELj1EdEEviPKiS2_PT2_S2_PiS2_S5_S5_d21rocsparse_index_base_imNS_24const_host_device_scalarIfEENS7_IdEENS7_IS3_EEb,comdat
.Lfunc_end14:
	.size	_ZN9rocsparseL12csrilu0_hashILj256ELj32ELj1EdEEviPKiS2_PT2_S2_PiS2_S5_S5_d21rocsparse_index_base_imNS_24const_host_device_scalarIfEENS7_IdEENS7_IS3_EEb, .Lfunc_end14-_ZN9rocsparseL12csrilu0_hashILj256ELj32ELj1EdEEviPKiS2_PT2_S2_PiS2_S5_S5_d21rocsparse_index_base_imNS_24const_host_device_scalarIfEENS7_IdEENS7_IS3_EEb
                                        ; -- End function
	.set _ZN9rocsparseL12csrilu0_hashILj256ELj32ELj1EdEEviPKiS2_PT2_S2_PiS2_S5_S5_d21rocsparse_index_base_imNS_24const_host_device_scalarIfEENS7_IdEENS7_IS3_EEb.num_vgpr, 30
	.set _ZN9rocsparseL12csrilu0_hashILj256ELj32ELj1EdEEviPKiS2_PT2_S2_PiS2_S5_S5_d21rocsparse_index_base_imNS_24const_host_device_scalarIfEENS7_IdEENS7_IS3_EEb.num_agpr, 0
	.set _ZN9rocsparseL12csrilu0_hashILj256ELj32ELj1EdEEviPKiS2_PT2_S2_PiS2_S5_S5_d21rocsparse_index_base_imNS_24const_host_device_scalarIfEENS7_IdEENS7_IS3_EEb.numbered_sgpr, 41
	.set _ZN9rocsparseL12csrilu0_hashILj256ELj32ELj1EdEEviPKiS2_PT2_S2_PiS2_S5_S5_d21rocsparse_index_base_imNS_24const_host_device_scalarIfEENS7_IdEENS7_IS3_EEb.num_named_barrier, 0
	.set _ZN9rocsparseL12csrilu0_hashILj256ELj32ELj1EdEEviPKiS2_PT2_S2_PiS2_S5_S5_d21rocsparse_index_base_imNS_24const_host_device_scalarIfEENS7_IdEENS7_IS3_EEb.private_seg_size, 0
	.set _ZN9rocsparseL12csrilu0_hashILj256ELj32ELj1EdEEviPKiS2_PT2_S2_PiS2_S5_S5_d21rocsparse_index_base_imNS_24const_host_device_scalarIfEENS7_IdEENS7_IS3_EEb.uses_vcc, 1
	.set _ZN9rocsparseL12csrilu0_hashILj256ELj32ELj1EdEEviPKiS2_PT2_S2_PiS2_S5_S5_d21rocsparse_index_base_imNS_24const_host_device_scalarIfEENS7_IdEENS7_IS3_EEb.uses_flat_scratch, 0
	.set _ZN9rocsparseL12csrilu0_hashILj256ELj32ELj1EdEEviPKiS2_PT2_S2_PiS2_S5_S5_d21rocsparse_index_base_imNS_24const_host_device_scalarIfEENS7_IdEENS7_IS3_EEb.has_dyn_sized_stack, 0
	.set _ZN9rocsparseL12csrilu0_hashILj256ELj32ELj1EdEEviPKiS2_PT2_S2_PiS2_S5_S5_d21rocsparse_index_base_imNS_24const_host_device_scalarIfEENS7_IdEENS7_IS3_EEb.has_recursion, 0
	.set _ZN9rocsparseL12csrilu0_hashILj256ELj32ELj1EdEEviPKiS2_PT2_S2_PiS2_S5_S5_d21rocsparse_index_base_imNS_24const_host_device_scalarIfEENS7_IdEENS7_IS3_EEb.has_indirect_call, 0
	.section	.AMDGPU.csdata,"",@progbits
; Kernel info:
; codeLenInByte = 3136
; TotalNumSgprs: 43
; NumVgprs: 30
; ScratchSize: 0
; MemoryBound: 0
; FloatMode: 240
; IeeeMode: 1
; LDSByteSize: 2048 bytes/workgroup (compile time only)
; SGPRBlocks: 0
; VGPRBlocks: 3
; NumSGPRsForWavesPerEU: 43
; NumVGPRsForWavesPerEU: 30
; Occupancy: 16
; WaveLimiterHint : 1
; COMPUTE_PGM_RSRC2:SCRATCH_EN: 0
; COMPUTE_PGM_RSRC2:USER_SGPR: 2
; COMPUTE_PGM_RSRC2:TRAP_HANDLER: 0
; COMPUTE_PGM_RSRC2:TGID_X_EN: 1
; COMPUTE_PGM_RSRC2:TGID_Y_EN: 0
; COMPUTE_PGM_RSRC2:TGID_Z_EN: 0
; COMPUTE_PGM_RSRC2:TIDIG_COMP_CNT: 0
	.section	.text._ZN9rocsparseL12csrilu0_hashILj256ELj32ELj2EdEEviPKiS2_PT2_S2_PiS2_S5_S5_d21rocsparse_index_base_imNS_24const_host_device_scalarIfEENS7_IdEENS7_IS3_EEb,"axG",@progbits,_ZN9rocsparseL12csrilu0_hashILj256ELj32ELj2EdEEviPKiS2_PT2_S2_PiS2_S5_S5_d21rocsparse_index_base_imNS_24const_host_device_scalarIfEENS7_IdEENS7_IS3_EEb,comdat
	.globl	_ZN9rocsparseL12csrilu0_hashILj256ELj32ELj2EdEEviPKiS2_PT2_S2_PiS2_S5_S5_d21rocsparse_index_base_imNS_24const_host_device_scalarIfEENS7_IdEENS7_IS3_EEb ; -- Begin function _ZN9rocsparseL12csrilu0_hashILj256ELj32ELj2EdEEviPKiS2_PT2_S2_PiS2_S5_S5_d21rocsparse_index_base_imNS_24const_host_device_scalarIfEENS7_IdEENS7_IS3_EEb
	.p2align	8
	.type	_ZN9rocsparseL12csrilu0_hashILj256ELj32ELj2EdEEviPKiS2_PT2_S2_PiS2_S5_S5_d21rocsparse_index_base_imNS_24const_host_device_scalarIfEENS7_IdEENS7_IS3_EEb,@function
_ZN9rocsparseL12csrilu0_hashILj256ELj32ELj2EdEEviPKiS2_PT2_S2_PiS2_S5_S5_d21rocsparse_index_base_imNS_24const_host_device_scalarIfEENS7_IdEENS7_IS3_EEb: ; @_ZN9rocsparseL12csrilu0_hashILj256ELj32ELj2EdEEviPKiS2_PT2_S2_PiS2_S5_S5_d21rocsparse_index_base_imNS_24const_host_device_scalarIfEENS7_IdEENS7_IS3_EEb
; %bb.0:
	s_clause 0x2
	s_load_b32 s2, s[0:1], 0x78
	s_load_b64 s[28:29], s[0:1], 0x50
	s_load_b256 s[20:27], s[0:1], 0x58
	s_wait_kmcnt 0x0
	s_bitcmp1_b32 s2, 0
	s_cselect_b32 s2, -1, 0
	s_cmp_eq_u32 s29, 0
	s_cselect_b32 s4, -1, 0
	s_cmp_lg_u32 s29, 0
	s_cselect_b32 s29, -1, 0
	s_or_b32 s6, s4, s2
	s_delay_alu instid0(SALU_CYCLE_1)
	s_xor_b32 s5, s6, -1
	s_and_b32 s2, s4, exec_lo
	s_cselect_b32 s3, 0, s25
	s_cselect_b32 s2, 0, s24
	;; [unrolled: 1-line block ×3, first 2 shown]
	s_and_b32 vcc_lo, exec_lo, s6
	s_cbranch_vccnz .LBB15_2
; %bb.1:
	s_load_b32 s30, s[22:23], 0x0
	s_mov_b64 s[2:3], s[24:25]
.LBB15_2:
	v_cndmask_b32_e64 v1, 0, 1, s5
	v_dual_mov_b32 v4, s3 :: v_dual_mov_b32 v3, s2
	s_and_not1_b32 vcc_lo, exec_lo, s5
	s_cbranch_vccnz .LBB15_4
; %bb.3:
	v_dual_mov_b32 v2, s24 :: v_dual_mov_b32 v3, s25
	flat_load_b64 v[3:4], v[2:3]
.LBB15_4:
	s_and_b32 s2, s4, exec_lo
	s_cselect_b32 s3, 0, s27
	v_cmp_ne_u32_e32 vcc_lo, 1, v1
	s_cselect_b32 s2, 0, s26
	s_wait_alu 0xfffe
	v_dual_mov_b32 v6, s3 :: v_dual_mov_b32 v5, s2
	s_mov_b32 s2, 0
	s_cbranch_vccnz .LBB15_6
; %bb.5:
	v_dual_mov_b32 v1, s26 :: v_dual_mov_b32 v2, s27
	flat_load_b64 v[5:6], v[1:2]
.LBB15_6:
	v_lshrrev_b32_e32 v1, 5, v0
	v_and_b32_e32 v18, 31, v0
	s_delay_alu instid0(VALU_DEP_2) | instskip(NEXT) | instid1(VALU_DEP_2)
	v_lshlrev_b32_e32 v7, 8, v1
	v_lshlrev_b32_e32 v8, 2, v18
	v_or_b32_e32 v2, 0xffffffe0, v18
	s_delay_alu instid0(VALU_DEP_2)
	v_or3_b32 v7, v7, v8, 0x800
	v_mov_b32_e32 v8, -1
.LBB15_7:                               ; =>This Inner Loop Header: Depth=1
	s_delay_alu instid0(VALU_DEP_3)
	v_add_co_u32 v2, s3, v2, 32
	s_xor_b32 s3, s3, -1
	ds_store_b32 v7, v8
	v_add_nc_u32_e32 v7, 0x80, v7
	s_wait_alu 0xfffe
	s_and_b32 s3, exec_lo, s3
	s_wait_alu 0xfffe
	s_or_b32 s2, s3, s2
	s_wait_alu 0xfffe
	s_and_not1_b32 exec_lo, exec_lo, s2
	s_cbranch_execnz .LBB15_7
; %bb.8:
	s_or_b32 exec_lo, exec_lo, s2
	s_load_b32 s2, s[0:1], 0x0
	s_lshl_b32 s3, ttmp9, 3
	s_wait_loadcnt_dscnt 0x0
	global_inv scope:SCOPE_SE
	s_wait_alu 0xfffe
	v_and_or_b32 v1, 0x7fffff8, s3, v1
	s_wait_kmcnt 0x0
	s_delay_alu instid0(VALU_DEP_1)
	v_cmp_gt_i32_e32 vcc_lo, s2, v1
	s_and_saveexec_b32 s2, vcc_lo
	s_cbranch_execz .LBB15_80
; %bb.9:
	s_load_b512 s[4:19], s[0:1], 0x8
	v_lshlrev_b32_e32 v1, 2, v1
	v_lshlrev_b32_e32 v0, 3, v0
	s_mov_b32 s2, exec_lo
	s_delay_alu instid0(VALU_DEP_1) | instskip(NEXT) | instid1(VALU_DEP_1)
	v_and_b32_e32 v0, 0x700, v0
	v_or_b32_e32 v19, 0x800, v0
	s_wait_kmcnt 0x0
	global_load_b32 v7, v1, s[14:15]
	s_wait_loadcnt 0x0
	v_ashrrev_i32_e32 v8, 31, v7
	s_delay_alu instid0(VALU_DEP_1) | instskip(NEXT) | instid1(VALU_DEP_1)
	v_lshlrev_b64_e32 v[1:2], 2, v[7:8]
	v_add_co_u32 v8, vcc_lo, s4, v1
	s_delay_alu instid0(VALU_DEP_1)
	v_add_co_ci_u32_e64 v9, null, s5, v2, vcc_lo
	v_add_co_u32 v11, vcc_lo, s10, v1
	s_wait_alu 0xfffd
	v_add_co_ci_u32_e64 v12, null, s11, v2, vcc_lo
	global_load_b64 v[9:10], v[8:9], off
	global_load_b32 v8, v[11:12], off
	s_wait_loadcnt 0x1
	v_subrev_nc_u32_e32 v9, s28, v9
	v_subrev_nc_u32_e32 v12, s28, v10
	s_delay_alu instid0(VALU_DEP_2) | instskip(NEXT) | instid1(VALU_DEP_1)
	v_add_nc_u32_e32 v10, v9, v18
	v_cmpx_lt_i32_e64 v10, v12
	s_cbranch_execz .LBB15_32
; %bb.10:
	v_mov_b32_e32 v13, -1
	s_mov_b32 s3, 0
	s_branch .LBB15_12
.LBB15_11:                              ;   in Loop: Header=BB15_12 Depth=1
	s_or_b32 exec_lo, exec_lo, s14
	v_add_nc_u32_e32 v10, 32, v10
	s_delay_alu instid0(VALU_DEP_1)
	v_cmp_ge_i32_e32 vcc_lo, v10, v12
	s_or_b32 s3, vcc_lo, s3
	s_wait_alu 0xfffe
	s_and_not1_b32 exec_lo, exec_lo, s3
	s_cbranch_execz .LBB15_32
.LBB15_12:                              ; =>This Loop Header: Depth=1
                                        ;     Child Loop BB15_21 Depth 2
	v_ashrrev_i32_e32 v11, 31, v10
	s_mov_b32 s14, 0
                                        ; implicit-def: $sgpr15
                                        ; implicit-def: $sgpr22
                                        ; implicit-def: $sgpr23
	s_delay_alu instid0(VALU_DEP_1) | instskip(NEXT) | instid1(VALU_DEP_1)
	v_lshlrev_b64_e32 v[14:15], 2, v[10:11]
	v_add_co_u32 v14, vcc_lo, s6, v14
	s_wait_alu 0xfffd
	s_delay_alu instid0(VALU_DEP_2)
	v_add_co_ci_u32_e64 v15, null, s7, v15, vcc_lo
	global_load_b32 v11, v[14:15], off
	v_mov_b32_e32 v14, 64
	s_wait_loadcnt 0x0
	v_mul_lo_u32 v16, v11, 39
	s_branch .LBB15_21
.LBB15_13:                              ;   in Loop: Header=BB15_21 Depth=2
	s_or_b32 exec_lo, exec_lo, s37
	s_delay_alu instid0(SALU_CYCLE_1)
	s_or_not1_b32 s35, s35, exec_lo
	s_or_not1_b32 s36, s36, exec_lo
.LBB15_14:                              ;   in Loop: Header=BB15_21 Depth=2
	s_or_b32 exec_lo, exec_lo, s34
	s_delay_alu instid0(SALU_CYCLE_1)
	s_and_b32 s35, s35, exec_lo
	s_or_not1_b32 s34, s36, exec_lo
.LBB15_15:                              ;   in Loop: Header=BB15_21 Depth=2
	s_or_b32 exec_lo, exec_lo, s33
	s_delay_alu instid0(SALU_CYCLE_1)
	s_or_not1_b32 s33, s35, exec_lo
	s_or_not1_b32 s34, s34, exec_lo
.LBB15_16:                              ;   in Loop: Header=BB15_21 Depth=2
	s_or_b32 exec_lo, exec_lo, s31
	s_delay_alu instid0(SALU_CYCLE_1)
	s_and_b32 s33, s33, exec_lo
	s_or_not1_b32 s31, s34, exec_lo
.LBB15_17:                              ;   in Loop: Header=BB15_21 Depth=2
	s_wait_alu 0xfffe
	s_or_b32 exec_lo, exec_lo, s27
	s_delay_alu instid0(SALU_CYCLE_1)
	s_or_not1_b32 s27, s33, exec_lo
	s_or_not1_b32 s31, s31, exec_lo
.LBB15_18:                              ;   in Loop: Header=BB15_21 Depth=2
	s_wait_alu 0xfffe
	s_or_b32 exec_lo, exec_lo, s26
	s_delay_alu instid0(SALU_CYCLE_1)
	s_and_b32 s27, s27, exec_lo
	s_or_not1_b32 s26, s31, exec_lo
.LBB15_19:                              ;   in Loop: Header=BB15_21 Depth=2
	s_wait_alu 0xfffe
	s_or_b32 exec_lo, exec_lo, s25
	s_delay_alu instid0(SALU_CYCLE_1)
	s_and_not1_b32 s23, s23, exec_lo
	s_and_b32 s25, s27, exec_lo
	s_and_not1_b32 s22, s22, exec_lo
	s_and_b32 s26, s26, exec_lo
	s_wait_alu 0xfffe
	s_or_b32 s23, s23, s25
	s_or_b32 s22, s22, s26
.LBB15_20:                              ;   in Loop: Header=BB15_21 Depth=2
	s_wait_alu 0xfffe
	s_or_b32 exec_lo, exec_lo, s24
	s_delay_alu instid0(SALU_CYCLE_1)
	s_and_b32 s24, exec_lo, s22
	s_wait_alu 0xfffe
	s_or_b32 s14, s24, s14
	s_and_not1_b32 s15, s15, exec_lo
	s_and_b32 s24, s23, exec_lo
	s_wait_alu 0xfffe
	s_or_b32 s15, s15, s24
	s_and_not1_b32 exec_lo, exec_lo, s14
	s_cbranch_execz .LBB15_30
.LBB15_21:                              ;   Parent Loop BB15_12 Depth=1
                                        ; =>  This Inner Loop Header: Depth=2
	s_delay_alu instid0(VALU_DEP_1) | instskip(SKIP_3) | instid1(VALU_DEP_1)
	v_and_b32_e32 v15, 63, v16
	s_or_b32 s23, s23, exec_lo
	s_or_b32 s22, s22, exec_lo
	s_mov_b32 s24, exec_lo
	v_lshl_add_u32 v17, v15, 2, v19
	ds_load_b32 v20, v17
	s_wait_dscnt 0x0
	v_cmpx_ne_u32_e64 v20, v11
	s_cbranch_execz .LBB15_20
; %bb.22:                               ;   in Loop: Header=BB15_21 Depth=2
	ds_cmpstore_rtn_b32 v17, v17, v11, v13
	s_mov_b32 s26, -1
	s_mov_b32 s27, 0
	s_mov_b32 s25, exec_lo
	s_wait_dscnt 0x0
	v_cmpx_ne_u32_e32 -1, v17
	s_cbranch_execz .LBB15_19
; %bb.23:                               ;   in Loop: Header=BB15_21 Depth=2
	v_add_nc_u32_e32 v15, 1, v16
	s_mov_b32 s31, -1
	s_mov_b32 s27, -1
	s_mov_b32 s26, exec_lo
	s_delay_alu instid0(VALU_DEP_1) | instskip(NEXT) | instid1(VALU_DEP_1)
	v_and_b32_e32 v15, 63, v15
	v_lshl_add_u32 v17, v15, 2, v19
	ds_load_b32 v20, v17
	s_wait_dscnt 0x0
	v_cmpx_ne_u32_e64 v20, v11
	s_cbranch_execz .LBB15_18
; %bb.24:                               ;   in Loop: Header=BB15_21 Depth=2
	ds_cmpstore_rtn_b32 v17, v17, v11, v13
	s_mov_b32 s33, 0
	s_mov_b32 s27, exec_lo
	s_wait_dscnt 0x0
	v_cmpx_ne_u32_e32 -1, v17
	s_cbranch_execz .LBB15_17
; %bb.25:                               ;   in Loop: Header=BB15_21 Depth=2
	v_add_nc_u32_e32 v15, 2, v16
	s_mov_b32 s34, -1
	s_mov_b32 s33, -1
	s_mov_b32 s31, exec_lo
	s_delay_alu instid0(VALU_DEP_1) | instskip(NEXT) | instid1(VALU_DEP_1)
	v_and_b32_e32 v15, 63, v15
	v_lshl_add_u32 v17, v15, 2, v19
	ds_load_b32 v20, v17
	s_wait_dscnt 0x0
	v_cmpx_ne_u32_e64 v20, v11
	s_cbranch_execz .LBB15_16
; %bb.26:                               ;   in Loop: Header=BB15_21 Depth=2
	ds_cmpstore_rtn_b32 v17, v17, v11, v13
	s_mov_b32 s35, 0
	s_mov_b32 s33, exec_lo
	s_wait_dscnt 0x0
	v_cmpx_ne_u32_e32 -1, v17
	s_cbranch_execz .LBB15_15
; %bb.27:                               ;   in Loop: Header=BB15_21 Depth=2
	v_add_nc_u32_e32 v15, 3, v16
	s_mov_b32 s36, -1
	s_mov_b32 s35, -1
	s_delay_alu instid0(VALU_DEP_1) | instskip(NEXT) | instid1(VALU_DEP_1)
	v_and_b32_e32 v15, 63, v15
	v_lshl_add_u32 v17, v15, 2, v19
	ds_load_b32 v16, v17
	s_wait_dscnt 0x0
	v_cmp_ne_u32_e32 vcc_lo, v16, v11
                                        ; implicit-def: $vgpr16
	s_and_saveexec_b32 s34, vcc_lo
	s_cbranch_execz .LBB15_14
; %bb.28:                               ;   in Loop: Header=BB15_21 Depth=2
	ds_cmpstore_rtn_b32 v16, v17, v11, v13
	s_mov_b32 s35, 0
	s_wait_dscnt 0x0
	v_cmp_ne_u32_e32 vcc_lo, -1, v16
                                        ; implicit-def: $vgpr16
	s_and_saveexec_b32 s37, vcc_lo
	s_cbranch_execz .LBB15_13
; %bb.29:                               ;   in Loop: Header=BB15_21 Depth=2
	v_add_nc_u32_e32 v14, -4, v14
	v_add_nc_u32_e32 v16, 1, v15
	s_mov_b32 s35, exec_lo
	s_delay_alu instid0(VALU_DEP_2)
	v_cmp_eq_u32_e32 vcc_lo, 0, v14
	s_or_not1_b32 s36, vcc_lo, exec_lo
	s_branch .LBB15_13
.LBB15_30:                              ;   in Loop: Header=BB15_12 Depth=1
	s_or_b32 exec_lo, exec_lo, s14
	s_xor_b32 s14, s15, -1
	s_delay_alu instid0(SALU_CYCLE_1) | instskip(NEXT) | instid1(SALU_CYCLE_1)
	s_and_saveexec_b32 s15, s14
	s_xor_b32 s14, exec_lo, s15
	s_cbranch_execz .LBB15_11
; %bb.31:                               ;   in Loop: Header=BB15_12 Depth=1
	v_lshl_add_u32 v11, v15, 2, v0
	ds_store_b32 v11, v10
	s_branch .LBB15_11
.LBB15_32:
	s_wait_alu 0xfffe
	s_or_b32 exec_lo, exec_lo, s2
	s_delay_alu instid0(SALU_CYCLE_1)
	s_mov_b32 s2, exec_lo
	s_wait_loadcnt_dscnt 0x0
	global_inv scope:SCOPE_SE
	v_cmpx_lt_i32_e64 v9, v8
	s_cbranch_execz .LBB15_62
; %bb.33:
	v_add_nc_u32_e32 v20, 1, v18
	s_mov_b32 s3, 0
	s_branch .LBB15_36
.LBB15_34:                              ;   in Loop: Header=BB15_36 Depth=1
	s_or_b32 exec_lo, exec_lo, s15
	v_add_nc_u32_e32 v9, 1, v9
	s_delay_alu instid0(VALU_DEP_1)
	v_cmp_ge_i32_e32 vcc_lo, v9, v8
	s_or_not1_b32 s15, vcc_lo, exec_lo
.LBB15_35:                              ;   in Loop: Header=BB15_36 Depth=1
	s_or_b32 exec_lo, exec_lo, s14
	s_delay_alu instid0(SALU_CYCLE_1)
	s_and_b32 s14, exec_lo, s15
	s_wait_alu 0xfffe
	s_or_b32 s3, s14, s3
	s_wait_alu 0xfffe
	s_and_not1_b32 exec_lo, exec_lo, s3
	s_cbranch_execz .LBB15_62
.LBB15_36:                              ; =>This Loop Header: Depth=1
                                        ;     Child Loop BB15_37 Depth 2
                                        ;     Child Loop BB15_42 Depth 2
                                        ;       Child Loop BB15_51 Depth 3
	v_ashrrev_i32_e32 v10, 31, v9
	s_mov_b32 s14, 0
	s_delay_alu instid0(VALU_DEP_1) | instskip(SKIP_1) | instid1(VALU_DEP_2)
	v_lshlrev_b64_e32 v[11:12], 2, v[9:10]
	v_lshlrev_b64_e32 v[13:14], 3, v[9:10]
	v_add_co_u32 v11, vcc_lo, s6, v11
	s_wait_alu 0xfffd
	s_delay_alu instid0(VALU_DEP_3) | instskip(NEXT) | instid1(VALU_DEP_3)
	v_add_co_ci_u32_e64 v12, null, s7, v12, vcc_lo
	v_add_co_u32 v13, vcc_lo, s8, v13
	s_wait_alu 0xfffd
	v_add_co_ci_u32_e64 v14, null, s9, v14, vcc_lo
	global_load_b32 v11, v[11:12], off
	s_wait_loadcnt 0x0
	v_subrev_nc_u32_e32 v11, s28, v11
	s_delay_alu instid0(VALU_DEP_1) | instskip(NEXT) | instid1(VALU_DEP_1)
	v_ashrrev_i32_e32 v12, 31, v11
	v_lshlrev_b64_e32 v[15:16], 2, v[11:12]
	s_delay_alu instid0(VALU_DEP_1) | instskip(SKIP_1) | instid1(VALU_DEP_2)
	v_add_co_u32 v21, vcc_lo, s4, v15
	s_wait_alu 0xfffd
	v_add_co_ci_u32_e64 v22, null, s5, v16, vcc_lo
	v_add_co_u32 v23, vcc_lo, s10, v15
	s_wait_alu 0xfffd
	v_add_co_ci_u32_e64 v24, null, s11, v16, vcc_lo
	global_load_b64 v[10:11], v[13:14], off
	global_load_b32 v12, v[21:22], off offset:4
	global_load_b32 v17, v[23:24], off
	v_add_co_u32 v15, vcc_lo, s12, v15
	s_wait_alu 0xfffd
	v_add_co_ci_u32_e64 v16, null, s13, v16, vcc_lo
.LBB15_37:                              ;   Parent Loop BB15_36 Depth=1
                                        ; =>  This Inner Loop Header: Depth=2
	global_load_b32 v21, v[15:16], off scope:SCOPE_DEV
	s_wait_loadcnt 0x0
	v_cmp_ne_u32_e32 vcc_lo, 0, v21
	s_or_b32 s14, vcc_lo, s14
	s_delay_alu instid0(SALU_CYCLE_1)
	s_and_not1_b32 exec_lo, exec_lo, s14
	s_cbranch_execnz .LBB15_37
; %bb.38:                               ;   in Loop: Header=BB15_36 Depth=1
	s_or_b32 exec_lo, exec_lo, s14
	v_subrev_nc_u32_e32 v21, s28, v12
	v_cmp_eq_u32_e32 vcc_lo, -1, v17
	global_inv scope:SCOPE_DEV
	s_mov_b32 s15, -1
	s_mov_b32 s14, exec_lo
	v_add_nc_u32_e32 v12, -1, v21
	s_wait_alu 0xfffd
	s_delay_alu instid0(VALU_DEP_1) | instskip(NEXT) | instid1(VALU_DEP_1)
	v_cndmask_b32_e32 v15, v17, v12, vcc_lo
	v_ashrrev_i32_e32 v16, 31, v15
	s_delay_alu instid0(VALU_DEP_1) | instskip(NEXT) | instid1(VALU_DEP_1)
	v_lshlrev_b64_e32 v[16:17], 3, v[15:16]
	v_add_co_u32 v16, vcc_lo, s8, v16
	s_wait_alu 0xfffd
	s_delay_alu instid0(VALU_DEP_2)
	v_add_co_ci_u32_e64 v17, null, s9, v17, vcc_lo
	global_load_b64 v[16:17], v[16:17], off
	s_wait_loadcnt 0x0
	v_cmpx_neq_f64_e32 0, v[16:17]
	s_cbranch_execz .LBB15_35
; %bb.39:                               ;   in Loop: Header=BB15_36 Depth=1
	v_div_scale_f64 v[22:23], null, v[16:17], v[16:17], v[10:11]
	v_add_nc_u32_e32 v12, v20, v15
	s_mov_b32 s15, exec_lo
	s_delay_alu instid0(VALU_DEP_2) | instskip(NEXT) | instid1(TRANS32_DEP_1)
	v_rcp_f64_e32 v[24:25], v[22:23]
	v_fma_f64 v[26:27], -v[22:23], v[24:25], 1.0
	s_delay_alu instid0(VALU_DEP_1) | instskip(NEXT) | instid1(VALU_DEP_1)
	v_fma_f64 v[24:25], v[24:25], v[26:27], v[24:25]
	v_fma_f64 v[26:27], -v[22:23], v[24:25], 1.0
	s_delay_alu instid0(VALU_DEP_1) | instskip(SKIP_1) | instid1(VALU_DEP_1)
	v_fma_f64 v[24:25], v[24:25], v[26:27], v[24:25]
	v_div_scale_f64 v[26:27], vcc_lo, v[10:11], v[16:17], v[10:11]
	v_mul_f64_e32 v[28:29], v[26:27], v[24:25]
	s_delay_alu instid0(VALU_DEP_1) | instskip(SKIP_1) | instid1(VALU_DEP_1)
	v_fma_f64 v[22:23], -v[22:23], v[28:29], v[26:27]
	s_wait_alu 0xfffd
	v_div_fmas_f64 v[22:23], v[22:23], v[24:25], v[28:29]
	s_delay_alu instid0(VALU_DEP_1)
	v_div_fixup_f64 v[10:11], v[22:23], v[16:17], v[10:11]
	global_store_b64 v[13:14], v[10:11], off
	v_cmpx_lt_i32_e64 v12, v21
	s_cbranch_execz .LBB15_34
; %bb.40:                               ;   in Loop: Header=BB15_36 Depth=1
	s_mov_b32 s22, 0
	s_branch .LBB15_42
.LBB15_41:                              ;   in Loop: Header=BB15_42 Depth=2
	s_or_b32 exec_lo, exec_lo, s23
	v_add_nc_u32_e32 v12, 32, v12
	s_delay_alu instid0(VALU_DEP_1) | instskip(SKIP_1) | instid1(SALU_CYCLE_1)
	v_cmp_ge_i32_e32 vcc_lo, v12, v21
	s_or_b32 s22, vcc_lo, s22
	s_and_not1_b32 exec_lo, exec_lo, s22
	s_cbranch_execz .LBB15_34
.LBB15_42:                              ;   Parent Loop BB15_36 Depth=1
                                        ; =>  This Loop Header: Depth=2
                                        ;       Child Loop BB15_51 Depth 3
	v_ashrrev_i32_e32 v13, 31, v12
	s_mov_b32 s23, 0
                                        ; implicit-def: $sgpr24
                                        ; implicit-def: $sgpr25
                                        ; implicit-def: $sgpr26
	s_delay_alu instid0(VALU_DEP_1) | instskip(NEXT) | instid1(VALU_DEP_1)
	v_lshlrev_b64_e32 v[14:15], 2, v[12:13]
	v_add_co_u32 v14, vcc_lo, s6, v14
	s_wait_alu 0xfffd
	s_delay_alu instid0(VALU_DEP_2)
	v_add_co_ci_u32_e64 v15, null, s7, v15, vcc_lo
	global_load_b32 v14, v[14:15], off
	v_mov_b32_e32 v15, 64
	s_wait_loadcnt 0x0
	v_mul_lo_u32 v17, v14, 39
	s_branch .LBB15_51
.LBB15_43:                              ;   in Loop: Header=BB15_51 Depth=3
	s_or_b32 exec_lo, exec_lo, s40
	s_delay_alu instid0(SALU_CYCLE_1)
	s_or_not1_b32 s38, s38, exec_lo
	s_or_not1_b32 s39, s39, exec_lo
.LBB15_44:                              ;   in Loop: Header=BB15_51 Depth=3
	s_or_b32 exec_lo, exec_lo, s37
	s_delay_alu instid0(SALU_CYCLE_1)
	s_and_b32 s38, s38, exec_lo
	s_or_not1_b32 s37, s39, exec_lo
.LBB15_45:                              ;   in Loop: Header=BB15_51 Depth=3
	s_or_b32 exec_lo, exec_lo, s36
	s_delay_alu instid0(SALU_CYCLE_1)
	s_or_not1_b32 s36, s38, exec_lo
	s_or_not1_b32 s37, s37, exec_lo
.LBB15_46:                              ;   in Loop: Header=BB15_51 Depth=3
	s_or_b32 exec_lo, exec_lo, s35
	s_delay_alu instid0(SALU_CYCLE_1)
	s_and_b32 s36, s36, exec_lo
	s_or_not1_b32 s35, s37, exec_lo
.LBB15_47:                              ;   in Loop: Header=BB15_51 Depth=3
	s_or_b32 exec_lo, exec_lo, s34
	s_delay_alu instid0(SALU_CYCLE_1)
	s_or_not1_b32 s34, s36, exec_lo
	s_or_not1_b32 s35, s35, exec_lo
.LBB15_48:                              ;   in Loop: Header=BB15_51 Depth=3
	s_or_b32 exec_lo, exec_lo, s33
	s_delay_alu instid0(SALU_CYCLE_1)
	s_and_b32 s34, s34, exec_lo
	s_or_not1_b32 s33, s35, exec_lo
.LBB15_49:                              ;   in Loop: Header=BB15_51 Depth=3
	s_or_b32 exec_lo, exec_lo, s31
	s_wait_alu 0xfffe
	s_and_not1_b32 s26, s26, exec_lo
	s_and_b32 s31, s34, exec_lo
	s_and_not1_b32 s25, s25, exec_lo
	s_and_b32 s33, s33, exec_lo
	s_wait_alu 0xfffe
	s_or_b32 s26, s26, s31
	s_or_b32 s25, s25, s33
.LBB15_50:                              ;   in Loop: Header=BB15_51 Depth=3
	s_wait_alu 0xfffe
	s_or_b32 exec_lo, exec_lo, s27
	s_delay_alu instid0(SALU_CYCLE_1)
	s_and_b32 s27, exec_lo, s25
	s_wait_alu 0xfffe
	s_or_b32 s23, s27, s23
	s_and_not1_b32 s24, s24, exec_lo
	s_and_b32 s27, s26, exec_lo
	s_wait_alu 0xfffe
	s_or_b32 s24, s24, s27
	s_and_not1_b32 exec_lo, exec_lo, s23
	s_cbranch_execz .LBB15_60
.LBB15_51:                              ;   Parent Loop BB15_36 Depth=1
                                        ;     Parent Loop BB15_42 Depth=2
                                        ; =>    This Inner Loop Header: Depth=3
	s_delay_alu instid0(VALU_DEP_1) | instskip(SKIP_3) | instid1(VALU_DEP_1)
	v_and_b32_e32 v16, 63, v17
	s_or_b32 s26, s26, exec_lo
	s_or_b32 s25, s25, exec_lo
	s_mov_b32 s27, exec_lo
	v_lshl_add_u32 v22, v16, 2, v19
	ds_load_b32 v22, v22
	s_wait_dscnt 0x0
	v_cmpx_ne_u32_e32 -1, v22
	s_cbranch_execz .LBB15_50
; %bb.52:                               ;   in Loop: Header=BB15_51 Depth=3
	s_mov_b32 s33, -1
	s_mov_b32 s34, 0
	s_mov_b32 s31, exec_lo
	v_cmpx_ne_u32_e64 v22, v14
	s_cbranch_execz .LBB15_49
; %bb.53:                               ;   in Loop: Header=BB15_51 Depth=3
	v_add_nc_u32_e32 v16, 1, v17
	s_mov_b32 s35, -1
	s_mov_b32 s34, -1
	s_mov_b32 s33, exec_lo
	s_delay_alu instid0(VALU_DEP_1) | instskip(NEXT) | instid1(VALU_DEP_1)
	v_and_b32_e32 v16, 63, v16
	v_lshl_add_u32 v22, v16, 2, v19
	ds_load_b32 v22, v22
	s_wait_dscnt 0x0
	v_cmpx_ne_u32_e32 -1, v22
	s_cbranch_execz .LBB15_48
; %bb.54:                               ;   in Loop: Header=BB15_51 Depth=3
	s_mov_b32 s36, 0
	s_mov_b32 s34, exec_lo
	v_cmpx_ne_u32_e64 v22, v14
	s_cbranch_execz .LBB15_47
; %bb.55:                               ;   in Loop: Header=BB15_51 Depth=3
	v_add_nc_u32_e32 v16, 2, v17
	s_mov_b32 s37, -1
	s_mov_b32 s36, -1
	s_mov_b32 s35, exec_lo
	s_delay_alu instid0(VALU_DEP_1) | instskip(NEXT) | instid1(VALU_DEP_1)
	v_and_b32_e32 v16, 63, v16
	v_lshl_add_u32 v22, v16, 2, v19
	ds_load_b32 v22, v22
	s_wait_dscnt 0x0
	v_cmpx_ne_u32_e32 -1, v22
	s_cbranch_execz .LBB15_46
; %bb.56:                               ;   in Loop: Header=BB15_51 Depth=3
	s_mov_b32 s38, 0
	s_mov_b32 s36, exec_lo
	v_cmpx_ne_u32_e64 v22, v14
	s_cbranch_execz .LBB15_45
; %bb.57:                               ;   in Loop: Header=BB15_51 Depth=3
	v_add_nc_u32_e32 v16, 3, v17
	s_mov_b32 s39, -1
	s_mov_b32 s38, -1
	s_mov_b32 s37, exec_lo
	s_delay_alu instid0(VALU_DEP_1) | instskip(NEXT) | instid1(VALU_DEP_1)
	v_and_b32_e32 v16, 63, v16
	v_lshl_add_u32 v17, v16, 2, v19
	ds_load_b32 v22, v17
                                        ; implicit-def: $vgpr17
	s_wait_dscnt 0x0
	v_cmpx_ne_u32_e32 -1, v22
	s_cbranch_execz .LBB15_44
; %bb.58:                               ;   in Loop: Header=BB15_51 Depth=3
	s_mov_b32 s38, 0
	s_mov_b32 s40, exec_lo
                                        ; implicit-def: $vgpr17
	v_cmpx_ne_u32_e64 v22, v14
	s_cbranch_execz .LBB15_43
; %bb.59:                               ;   in Loop: Header=BB15_51 Depth=3
	v_add_nc_u32_e32 v15, -4, v15
	v_add_nc_u32_e32 v17, 1, v16
	s_mov_b32 s38, exec_lo
	s_delay_alu instid0(VALU_DEP_2)
	v_cmp_eq_u32_e32 vcc_lo, 0, v15
	s_or_not1_b32 s39, vcc_lo, exec_lo
	s_branch .LBB15_43
.LBB15_60:                              ;   in Loop: Header=BB15_42 Depth=2
	s_or_b32 exec_lo, exec_lo, s23
	s_wait_alu 0xfffe
	s_xor_b32 s23, s24, -1
	s_delay_alu instid0(SALU_CYCLE_1)
	s_and_saveexec_b32 s24, s23
	s_wait_alu 0xfffe
	s_xor_b32 s23, exec_lo, s24
	s_cbranch_execz .LBB15_41
; %bb.61:                               ;   in Loop: Header=BB15_42 Depth=2
	v_lshl_add_u32 v14, v16, 2, v0
	v_lshlrev_b64_e32 v[16:17], 3, v[12:13]
	ds_load_b32 v14, v14
	s_wait_dscnt 0x0
	v_ashrrev_i32_e32 v15, 31, v14
	s_delay_alu instid0(VALU_DEP_1) | instskip(SKIP_3) | instid1(VALU_DEP_3)
	v_lshlrev_b64_e32 v[13:14], 3, v[14:15]
	v_add_co_u32 v15, vcc_lo, s8, v16
	s_wait_alu 0xfffd
	v_add_co_ci_u32_e64 v16, null, s9, v17, vcc_lo
	v_add_co_u32 v13, vcc_lo, s8, v13
	s_wait_alu 0xfffd
	v_add_co_ci_u32_e64 v14, null, s9, v14, vcc_lo
	s_clause 0x1
	global_load_b64 v[15:16], v[15:16], off
	global_load_b64 v[22:23], v[13:14], off
	s_wait_loadcnt 0x0
	v_fma_f64 v[15:16], -v[10:11], v[15:16], v[22:23]
	global_store_b64 v[13:14], v[15:16], off
	s_branch .LBB15_41
.LBB15_62:
	s_wait_alu 0xfffe
	s_or_b32 exec_lo, exec_lo, s2
	s_mov_b32 s4, -1
	s_mov_b32 s3, exec_lo
	s_wait_loadcnt 0x0
	s_wait_storecnt 0x0
	global_inv scope:SCOPE_SE
	v_cmpx_lt_i32_e32 -1, v8
	s_cbranch_execz .LBB15_78
; %bb.63:
	v_mov_b32_e32 v9, 0
	v_cmp_eq_u32_e64 s2, 0, v18
	s_delay_alu instid0(VALU_DEP_2) | instskip(NEXT) | instid1(VALU_DEP_1)
	v_lshlrev_b64_e32 v[8:9], 3, v[8:9]
	v_add_co_u32 v12, vcc_lo, s8, v8
	s_wait_alu 0xfffd
	s_delay_alu instid0(VALU_DEP_2)
	v_add_co_ci_u32_e64 v13, null, s9, v9, vcc_lo
	global_load_b64 v[8:9], v[12:13], off
	s_wait_loadcnt 0x0
	v_cmp_gt_f64_e32 vcc_lo, 0, v[8:9]
	v_xor_b32_e32 v0, 0x80000000, v9
	s_wait_alu 0xfffd
	s_delay_alu instid0(VALU_DEP_1)
	v_dual_mov_b32 v10, v8 :: v_dual_cndmask_b32 v11, v9, v0
	s_and_not1_b32 vcc_lo, exec_lo, s29
	s_wait_alu 0xfffe
	s_cbranch_vccnz .LBB15_67
; %bb.64:
	v_cvt_f64_f32_e32 v[14:15], s30
	s_cmp_eq_u64 s[20:21], 8
	s_cselect_b32 vcc_lo, -1, 0
	s_wait_alu 0xfffe
	s_delay_alu instid0(VALU_DEP_1) | instskip(NEXT) | instid1(VALU_DEP_1)
	v_dual_cndmask_b32 v4, v15, v4 :: v_dual_cndmask_b32 v3, v14, v3
	v_cmp_le_f64_e32 vcc_lo, v[10:11], v[3:4]
	s_and_b32 s5, s2, vcc_lo
	s_wait_alu 0xfffe
	s_and_saveexec_b32 s4, s5
	s_cbranch_execz .LBB15_66
; %bb.65:
	global_store_b64 v[12:13], v[5:6], off
	s_wait_storecnt 0x0
	global_inv scope:SCOPE_DEV
.LBB15_66:
	s_wait_alu 0xfffe
	s_or_b32 exec_lo, exec_lo, s4
	s_mov_b32 s4, 0
.LBB15_67:
	s_wait_alu 0xfffe
	s_and_not1_b32 vcc_lo, exec_lo, s4
	s_wait_alu 0xfffe
	s_cbranch_vccnz .LBB15_78
; %bb.68:
	s_load_b64 s[0:1], s[0:1], 0x48
	v_add_nc_u32_e32 v0, s28, v7
	s_wait_kmcnt 0x0
	v_cmp_ge_f64_e32 vcc_lo, s[0:1], v[10:11]
	s_and_b32 s1, s2, vcc_lo
	s_wait_alu 0xfffe
	s_and_saveexec_b32 s0, s1
	s_cbranch_execz .LBB15_73
; %bb.69:
	s_mov_b32 s4, exec_lo
	s_brev_b32 s1, -2
.LBB15_70:                              ; =>This Inner Loop Header: Depth=1
	s_wait_alu 0xfffe
	s_ctz_i32_b32 s5, s4
	s_wait_alu 0xfffe
	v_readlane_b32 s6, v0, s5
	s_lshl_b32 s5, 1, s5
	s_wait_alu 0xfffe
	s_and_not1_b32 s4, s4, s5
	s_min_i32 s1, s1, s6
	s_wait_alu 0xfffe
	s_cmp_lg_u32 s4, 0
	s_cbranch_scc1 .LBB15_70
; %bb.71:
	v_mbcnt_lo_u32_b32 v3, exec_lo, 0
	s_mov_b32 s4, exec_lo
	s_delay_alu instid0(VALU_DEP_1)
	v_cmpx_eq_u32_e32 0, v3
	s_wait_alu 0xfffe
	s_xor_b32 s4, exec_lo, s4
	s_cbranch_execz .LBB15_73
; %bb.72:
	v_dual_mov_b32 v3, 0 :: v_dual_mov_b32 v4, s1
	global_atomic_min_i32 v3, v4, s[18:19] scope:SCOPE_DEV
.LBB15_73:
	s_wait_alu 0xfffe
	s_or_b32 exec_lo, exec_lo, s0
	v_cmp_eq_f64_e32 vcc_lo, 0, v[8:9]
	s_and_b32 s0, s2, vcc_lo
	s_wait_alu 0xfffe
	s_and_b32 exec_lo, exec_lo, s0
	s_cbranch_execz .LBB15_78
; %bb.74:
	s_mov_b32 s1, exec_lo
	s_brev_b32 s0, -2
.LBB15_75:                              ; =>This Inner Loop Header: Depth=1
	s_wait_alu 0xfffe
	s_ctz_i32_b32 s2, s1
	s_wait_alu 0xfffe
	v_readlane_b32 s4, v0, s2
	s_lshl_b32 s2, 1, s2
	s_wait_alu 0xfffe
	s_and_not1_b32 s1, s1, s2
	s_min_i32 s0, s0, s4
	s_wait_alu 0xfffe
	s_cmp_lg_u32 s1, 0
	s_cbranch_scc1 .LBB15_75
; %bb.76:
	v_mbcnt_lo_u32_b32 v0, exec_lo, 0
	s_mov_b32 s1, exec_lo
	s_delay_alu instid0(VALU_DEP_1)
	v_cmpx_eq_u32_e32 0, v0
	s_wait_alu 0xfffe
	s_xor_b32 s1, exec_lo, s1
	s_cbranch_execz .LBB15_78
; %bb.77:
	v_dual_mov_b32 v0, 0 :: v_dual_mov_b32 v3, s0
	global_atomic_min_i32 v0, v3, s[16:17] scope:SCOPE_DEV
.LBB15_78:
	s_wait_alu 0xfffe
	s_or_b32 exec_lo, exec_lo, s3
	v_cmp_eq_u32_e32 vcc_lo, 0, v18
	s_wait_loadcnt 0x0
	s_wait_storecnt 0x0
	global_inv scope:SCOPE_DEV
	s_and_b32 exec_lo, exec_lo, vcc_lo
	s_cbranch_execz .LBB15_80
; %bb.79:
	v_add_co_u32 v0, vcc_lo, s12, v1
	s_wait_alu 0xfffd
	v_add_co_ci_u32_e64 v1, null, s13, v2, vcc_lo
	v_mov_b32_e32 v2, 1
	s_wait_loadcnt 0x0
	global_store_b32 v[0:1], v2, off scope:SCOPE_DEV
.LBB15_80:
	s_endpgm
	.section	.rodata,"a",@progbits
	.p2align	6, 0x0
	.amdhsa_kernel _ZN9rocsparseL12csrilu0_hashILj256ELj32ELj2EdEEviPKiS2_PT2_S2_PiS2_S5_S5_d21rocsparse_index_base_imNS_24const_host_device_scalarIfEENS7_IdEENS7_IS3_EEb
		.amdhsa_group_segment_fixed_size 4096
		.amdhsa_private_segment_fixed_size 0
		.amdhsa_kernarg_size 124
		.amdhsa_user_sgpr_count 2
		.amdhsa_user_sgpr_dispatch_ptr 0
		.amdhsa_user_sgpr_queue_ptr 0
		.amdhsa_user_sgpr_kernarg_segment_ptr 1
		.amdhsa_user_sgpr_dispatch_id 0
		.amdhsa_user_sgpr_private_segment_size 0
		.amdhsa_wavefront_size32 1
		.amdhsa_uses_dynamic_stack 0
		.amdhsa_enable_private_segment 0
		.amdhsa_system_sgpr_workgroup_id_x 1
		.amdhsa_system_sgpr_workgroup_id_y 0
		.amdhsa_system_sgpr_workgroup_id_z 0
		.amdhsa_system_sgpr_workgroup_info 0
		.amdhsa_system_vgpr_workitem_id 0
		.amdhsa_next_free_vgpr 30
		.amdhsa_next_free_sgpr 41
		.amdhsa_reserve_vcc 1
		.amdhsa_float_round_mode_32 0
		.amdhsa_float_round_mode_16_64 0
		.amdhsa_float_denorm_mode_32 3
		.amdhsa_float_denorm_mode_16_64 3
		.amdhsa_fp16_overflow 0
		.amdhsa_workgroup_processor_mode 1
		.amdhsa_memory_ordered 1
		.amdhsa_forward_progress 1
		.amdhsa_inst_pref_size 26
		.amdhsa_round_robin_scheduling 0
		.amdhsa_exception_fp_ieee_invalid_op 0
		.amdhsa_exception_fp_denorm_src 0
		.amdhsa_exception_fp_ieee_div_zero 0
		.amdhsa_exception_fp_ieee_overflow 0
		.amdhsa_exception_fp_ieee_underflow 0
		.amdhsa_exception_fp_ieee_inexact 0
		.amdhsa_exception_int_div_zero 0
	.end_amdhsa_kernel
	.section	.text._ZN9rocsparseL12csrilu0_hashILj256ELj32ELj2EdEEviPKiS2_PT2_S2_PiS2_S5_S5_d21rocsparse_index_base_imNS_24const_host_device_scalarIfEENS7_IdEENS7_IS3_EEb,"axG",@progbits,_ZN9rocsparseL12csrilu0_hashILj256ELj32ELj2EdEEviPKiS2_PT2_S2_PiS2_S5_S5_d21rocsparse_index_base_imNS_24const_host_device_scalarIfEENS7_IdEENS7_IS3_EEb,comdat
.Lfunc_end15:
	.size	_ZN9rocsparseL12csrilu0_hashILj256ELj32ELj2EdEEviPKiS2_PT2_S2_PiS2_S5_S5_d21rocsparse_index_base_imNS_24const_host_device_scalarIfEENS7_IdEENS7_IS3_EEb, .Lfunc_end15-_ZN9rocsparseL12csrilu0_hashILj256ELj32ELj2EdEEviPKiS2_PT2_S2_PiS2_S5_S5_d21rocsparse_index_base_imNS_24const_host_device_scalarIfEENS7_IdEENS7_IS3_EEb
                                        ; -- End function
	.set _ZN9rocsparseL12csrilu0_hashILj256ELj32ELj2EdEEviPKiS2_PT2_S2_PiS2_S5_S5_d21rocsparse_index_base_imNS_24const_host_device_scalarIfEENS7_IdEENS7_IS3_EEb.num_vgpr, 30
	.set _ZN9rocsparseL12csrilu0_hashILj256ELj32ELj2EdEEviPKiS2_PT2_S2_PiS2_S5_S5_d21rocsparse_index_base_imNS_24const_host_device_scalarIfEENS7_IdEENS7_IS3_EEb.num_agpr, 0
	.set _ZN9rocsparseL12csrilu0_hashILj256ELj32ELj2EdEEviPKiS2_PT2_S2_PiS2_S5_S5_d21rocsparse_index_base_imNS_24const_host_device_scalarIfEENS7_IdEENS7_IS3_EEb.numbered_sgpr, 41
	.set _ZN9rocsparseL12csrilu0_hashILj256ELj32ELj2EdEEviPKiS2_PT2_S2_PiS2_S5_S5_d21rocsparse_index_base_imNS_24const_host_device_scalarIfEENS7_IdEENS7_IS3_EEb.num_named_barrier, 0
	.set _ZN9rocsparseL12csrilu0_hashILj256ELj32ELj2EdEEviPKiS2_PT2_S2_PiS2_S5_S5_d21rocsparse_index_base_imNS_24const_host_device_scalarIfEENS7_IdEENS7_IS3_EEb.private_seg_size, 0
	.set _ZN9rocsparseL12csrilu0_hashILj256ELj32ELj2EdEEviPKiS2_PT2_S2_PiS2_S5_S5_d21rocsparse_index_base_imNS_24const_host_device_scalarIfEENS7_IdEENS7_IS3_EEb.uses_vcc, 1
	.set _ZN9rocsparseL12csrilu0_hashILj256ELj32ELj2EdEEviPKiS2_PT2_S2_PiS2_S5_S5_d21rocsparse_index_base_imNS_24const_host_device_scalarIfEENS7_IdEENS7_IS3_EEb.uses_flat_scratch, 0
	.set _ZN9rocsparseL12csrilu0_hashILj256ELj32ELj2EdEEviPKiS2_PT2_S2_PiS2_S5_S5_d21rocsparse_index_base_imNS_24const_host_device_scalarIfEENS7_IdEENS7_IS3_EEb.has_dyn_sized_stack, 0
	.set _ZN9rocsparseL12csrilu0_hashILj256ELj32ELj2EdEEviPKiS2_PT2_S2_PiS2_S5_S5_d21rocsparse_index_base_imNS_24const_host_device_scalarIfEENS7_IdEENS7_IS3_EEb.has_recursion, 0
	.set _ZN9rocsparseL12csrilu0_hashILj256ELj32ELj2EdEEviPKiS2_PT2_S2_PiS2_S5_S5_d21rocsparse_index_base_imNS_24const_host_device_scalarIfEENS7_IdEENS7_IS3_EEb.has_indirect_call, 0
	.section	.AMDGPU.csdata,"",@progbits
; Kernel info:
; codeLenInByte = 3224
; TotalNumSgprs: 43
; NumVgprs: 30
; ScratchSize: 0
; MemoryBound: 0
; FloatMode: 240
; IeeeMode: 1
; LDSByteSize: 4096 bytes/workgroup (compile time only)
; SGPRBlocks: 0
; VGPRBlocks: 3
; NumSGPRsForWavesPerEU: 43
; NumVGPRsForWavesPerEU: 30
; Occupancy: 16
; WaveLimiterHint : 1
; COMPUTE_PGM_RSRC2:SCRATCH_EN: 0
; COMPUTE_PGM_RSRC2:USER_SGPR: 2
; COMPUTE_PGM_RSRC2:TRAP_HANDLER: 0
; COMPUTE_PGM_RSRC2:TGID_X_EN: 1
; COMPUTE_PGM_RSRC2:TGID_Y_EN: 0
; COMPUTE_PGM_RSRC2:TGID_Z_EN: 0
; COMPUTE_PGM_RSRC2:TIDIG_COMP_CNT: 0
	.section	.text._ZN9rocsparseL12csrilu0_hashILj256ELj32ELj4EdEEviPKiS2_PT2_S2_PiS2_S5_S5_d21rocsparse_index_base_imNS_24const_host_device_scalarIfEENS7_IdEENS7_IS3_EEb,"axG",@progbits,_ZN9rocsparseL12csrilu0_hashILj256ELj32ELj4EdEEviPKiS2_PT2_S2_PiS2_S5_S5_d21rocsparse_index_base_imNS_24const_host_device_scalarIfEENS7_IdEENS7_IS3_EEb,comdat
	.globl	_ZN9rocsparseL12csrilu0_hashILj256ELj32ELj4EdEEviPKiS2_PT2_S2_PiS2_S5_S5_d21rocsparse_index_base_imNS_24const_host_device_scalarIfEENS7_IdEENS7_IS3_EEb ; -- Begin function _ZN9rocsparseL12csrilu0_hashILj256ELj32ELj4EdEEviPKiS2_PT2_S2_PiS2_S5_S5_d21rocsparse_index_base_imNS_24const_host_device_scalarIfEENS7_IdEENS7_IS3_EEb
	.p2align	8
	.type	_ZN9rocsparseL12csrilu0_hashILj256ELj32ELj4EdEEviPKiS2_PT2_S2_PiS2_S5_S5_d21rocsparse_index_base_imNS_24const_host_device_scalarIfEENS7_IdEENS7_IS3_EEb,@function
_ZN9rocsparseL12csrilu0_hashILj256ELj32ELj4EdEEviPKiS2_PT2_S2_PiS2_S5_S5_d21rocsparse_index_base_imNS_24const_host_device_scalarIfEENS7_IdEENS7_IS3_EEb: ; @_ZN9rocsparseL12csrilu0_hashILj256ELj32ELj4EdEEviPKiS2_PT2_S2_PiS2_S5_S5_d21rocsparse_index_base_imNS_24const_host_device_scalarIfEENS7_IdEENS7_IS3_EEb
; %bb.0:
	s_clause 0x2
	s_load_b32 s2, s[0:1], 0x78
	s_load_b64 s[28:29], s[0:1], 0x50
	s_load_b256 s[20:27], s[0:1], 0x58
	s_wait_kmcnt 0x0
	s_bitcmp1_b32 s2, 0
	s_cselect_b32 s2, -1, 0
	s_cmp_eq_u32 s29, 0
	s_cselect_b32 s4, -1, 0
	s_cmp_lg_u32 s29, 0
	s_cselect_b32 s29, -1, 0
	s_or_b32 s6, s4, s2
	s_delay_alu instid0(SALU_CYCLE_1)
	s_xor_b32 s5, s6, -1
	s_and_b32 s2, s4, exec_lo
	s_cselect_b32 s3, 0, s25
	s_cselect_b32 s2, 0, s24
	;; [unrolled: 1-line block ×3, first 2 shown]
	s_and_b32 vcc_lo, exec_lo, s6
	s_cbranch_vccnz .LBB16_2
; %bb.1:
	s_load_b32 s30, s[22:23], 0x0
	s_mov_b64 s[2:3], s[24:25]
.LBB16_2:
	v_cndmask_b32_e64 v1, 0, 1, s5
	v_dual_mov_b32 v4, s3 :: v_dual_mov_b32 v3, s2
	s_and_not1_b32 vcc_lo, exec_lo, s5
	s_cbranch_vccnz .LBB16_4
; %bb.3:
	v_dual_mov_b32 v2, s24 :: v_dual_mov_b32 v3, s25
	flat_load_b64 v[3:4], v[2:3]
.LBB16_4:
	s_and_b32 s2, s4, exec_lo
	s_cselect_b32 s3, 0, s27
	v_cmp_ne_u32_e32 vcc_lo, 1, v1
	s_cselect_b32 s2, 0, s26
	s_wait_alu 0xfffe
	v_dual_mov_b32 v6, s3 :: v_dual_mov_b32 v5, s2
	s_mov_b32 s2, 0
	s_cbranch_vccnz .LBB16_6
; %bb.5:
	v_dual_mov_b32 v1, s26 :: v_dual_mov_b32 v2, s27
	flat_load_b64 v[5:6], v[1:2]
.LBB16_6:
	v_lshrrev_b32_e32 v1, 5, v0
	v_and_b32_e32 v18, 31, v0
	s_delay_alu instid0(VALU_DEP_2) | instskip(NEXT) | instid1(VALU_DEP_2)
	v_lshlrev_b32_e32 v7, 9, v1
	v_lshlrev_b32_e32 v8, 2, v18
	v_or_b32_e32 v2, 0xffffffe0, v18
	s_delay_alu instid0(VALU_DEP_2)
	v_or3_b32 v7, v7, v8, 0x1000
	v_mov_b32_e32 v8, -1
.LBB16_7:                               ; =>This Inner Loop Header: Depth=1
	s_delay_alu instid0(VALU_DEP_3)
	v_add_nc_u32_e32 v2, 32, v2
	ds_store_b32 v7, v8
	v_add_nc_u32_e32 v7, 0x80, v7
	v_cmp_lt_u32_e32 vcc_lo, 0x5f, v2
	s_wait_alu 0xfffe
	s_or_b32 s2, vcc_lo, s2
	s_wait_alu 0xfffe
	s_and_not1_b32 exec_lo, exec_lo, s2
	s_cbranch_execnz .LBB16_7
; %bb.8:
	s_or_b32 exec_lo, exec_lo, s2
	s_load_b32 s2, s[0:1], 0x0
	s_lshl_b32 s3, ttmp9, 3
	s_wait_loadcnt_dscnt 0x0
	global_inv scope:SCOPE_SE
	s_wait_alu 0xfffe
	v_and_or_b32 v1, 0x7fffff8, s3, v1
	s_wait_kmcnt 0x0
	s_delay_alu instid0(VALU_DEP_1)
	v_cmp_gt_i32_e32 vcc_lo, s2, v1
	s_and_saveexec_b32 s2, vcc_lo
	s_cbranch_execz .LBB16_80
; %bb.9:
	s_load_b512 s[4:19], s[0:1], 0x8
	v_lshlrev_b32_e32 v1, 2, v1
	v_lshlrev_b32_e32 v0, 4, v0
	s_mov_b32 s2, exec_lo
	s_delay_alu instid0(VALU_DEP_1) | instskip(NEXT) | instid1(VALU_DEP_1)
	v_and_b32_e32 v0, 0xe00, v0
	v_or_b32_e32 v19, 0x1000, v0
	s_wait_kmcnt 0x0
	global_load_b32 v7, v1, s[14:15]
	s_wait_loadcnt 0x0
	v_ashrrev_i32_e32 v8, 31, v7
	s_delay_alu instid0(VALU_DEP_1) | instskip(NEXT) | instid1(VALU_DEP_1)
	v_lshlrev_b64_e32 v[1:2], 2, v[7:8]
	v_add_co_u32 v8, vcc_lo, s4, v1
	s_delay_alu instid0(VALU_DEP_1)
	v_add_co_ci_u32_e64 v9, null, s5, v2, vcc_lo
	v_add_co_u32 v11, vcc_lo, s10, v1
	s_wait_alu 0xfffd
	v_add_co_ci_u32_e64 v12, null, s11, v2, vcc_lo
	global_load_b64 v[9:10], v[8:9], off
	global_load_b32 v8, v[11:12], off
	s_wait_loadcnt 0x1
	v_subrev_nc_u32_e32 v9, s28, v9
	v_subrev_nc_u32_e32 v12, s28, v10
	s_delay_alu instid0(VALU_DEP_2) | instskip(NEXT) | instid1(VALU_DEP_1)
	v_add_nc_u32_e32 v10, v9, v18
	v_cmpx_lt_i32_e64 v10, v12
	s_cbranch_execz .LBB16_32
; %bb.10:
	v_mov_b32_e32 v13, -1
	s_mov_b32 s3, 0
	s_branch .LBB16_12
.LBB16_11:                              ;   in Loop: Header=BB16_12 Depth=1
	s_or_b32 exec_lo, exec_lo, s14
	v_add_nc_u32_e32 v10, 32, v10
	s_delay_alu instid0(VALU_DEP_1)
	v_cmp_ge_i32_e32 vcc_lo, v10, v12
	s_or_b32 s3, vcc_lo, s3
	s_wait_alu 0xfffe
	s_and_not1_b32 exec_lo, exec_lo, s3
	s_cbranch_execz .LBB16_32
.LBB16_12:                              ; =>This Loop Header: Depth=1
                                        ;     Child Loop BB16_21 Depth 2
	v_ashrrev_i32_e32 v11, 31, v10
	s_mov_b32 s14, 0
                                        ; implicit-def: $sgpr15
                                        ; implicit-def: $sgpr22
                                        ; implicit-def: $sgpr23
	s_delay_alu instid0(VALU_DEP_1) | instskip(NEXT) | instid1(VALU_DEP_1)
	v_lshlrev_b64_e32 v[14:15], 2, v[10:11]
	v_add_co_u32 v14, vcc_lo, s6, v14
	s_wait_alu 0xfffd
	s_delay_alu instid0(VALU_DEP_2)
	v_add_co_ci_u32_e64 v15, null, s7, v15, vcc_lo
	global_load_b32 v11, v[14:15], off
	v_mov_b32_e32 v14, 0x80
	s_wait_loadcnt 0x0
	v_mul_lo_u32 v16, 0x67, v11
	s_branch .LBB16_21
.LBB16_13:                              ;   in Loop: Header=BB16_21 Depth=2
	s_or_b32 exec_lo, exec_lo, s37
	s_delay_alu instid0(SALU_CYCLE_1)
	s_or_not1_b32 s35, s35, exec_lo
	s_or_not1_b32 s36, s36, exec_lo
.LBB16_14:                              ;   in Loop: Header=BB16_21 Depth=2
	s_or_b32 exec_lo, exec_lo, s34
	s_delay_alu instid0(SALU_CYCLE_1)
	s_and_b32 s35, s35, exec_lo
	s_or_not1_b32 s34, s36, exec_lo
.LBB16_15:                              ;   in Loop: Header=BB16_21 Depth=2
	s_or_b32 exec_lo, exec_lo, s33
	s_delay_alu instid0(SALU_CYCLE_1)
	s_or_not1_b32 s33, s35, exec_lo
	s_or_not1_b32 s34, s34, exec_lo
.LBB16_16:                              ;   in Loop: Header=BB16_21 Depth=2
	s_or_b32 exec_lo, exec_lo, s31
	s_delay_alu instid0(SALU_CYCLE_1)
	s_and_b32 s33, s33, exec_lo
	s_or_not1_b32 s31, s34, exec_lo
.LBB16_17:                              ;   in Loop: Header=BB16_21 Depth=2
	s_wait_alu 0xfffe
	s_or_b32 exec_lo, exec_lo, s27
	s_delay_alu instid0(SALU_CYCLE_1)
	s_or_not1_b32 s27, s33, exec_lo
	s_or_not1_b32 s31, s31, exec_lo
.LBB16_18:                              ;   in Loop: Header=BB16_21 Depth=2
	s_wait_alu 0xfffe
	s_or_b32 exec_lo, exec_lo, s26
	s_delay_alu instid0(SALU_CYCLE_1)
	s_and_b32 s27, s27, exec_lo
	s_or_not1_b32 s26, s31, exec_lo
.LBB16_19:                              ;   in Loop: Header=BB16_21 Depth=2
	s_wait_alu 0xfffe
	s_or_b32 exec_lo, exec_lo, s25
	s_delay_alu instid0(SALU_CYCLE_1)
	s_and_not1_b32 s23, s23, exec_lo
	s_and_b32 s25, s27, exec_lo
	s_and_not1_b32 s22, s22, exec_lo
	s_and_b32 s26, s26, exec_lo
	s_wait_alu 0xfffe
	s_or_b32 s23, s23, s25
	s_or_b32 s22, s22, s26
.LBB16_20:                              ;   in Loop: Header=BB16_21 Depth=2
	s_wait_alu 0xfffe
	s_or_b32 exec_lo, exec_lo, s24
	s_delay_alu instid0(SALU_CYCLE_1)
	s_and_b32 s24, exec_lo, s22
	s_wait_alu 0xfffe
	s_or_b32 s14, s24, s14
	s_and_not1_b32 s15, s15, exec_lo
	s_and_b32 s24, s23, exec_lo
	s_wait_alu 0xfffe
	s_or_b32 s15, s15, s24
	s_and_not1_b32 exec_lo, exec_lo, s14
	s_cbranch_execz .LBB16_30
.LBB16_21:                              ;   Parent Loop BB16_12 Depth=1
                                        ; =>  This Inner Loop Header: Depth=2
	s_delay_alu instid0(VALU_DEP_1) | instskip(SKIP_3) | instid1(VALU_DEP_1)
	v_and_b32_e32 v15, 0x7f, v16
	s_or_b32 s23, s23, exec_lo
	s_or_b32 s22, s22, exec_lo
	s_mov_b32 s24, exec_lo
	v_lshl_add_u32 v17, v15, 2, v19
	ds_load_b32 v20, v17
	s_wait_dscnt 0x0
	v_cmpx_ne_u32_e64 v20, v11
	s_cbranch_execz .LBB16_20
; %bb.22:                               ;   in Loop: Header=BB16_21 Depth=2
	ds_cmpstore_rtn_b32 v17, v17, v11, v13
	s_mov_b32 s26, -1
	s_mov_b32 s27, 0
	s_mov_b32 s25, exec_lo
	s_wait_dscnt 0x0
	v_cmpx_ne_u32_e32 -1, v17
	s_cbranch_execz .LBB16_19
; %bb.23:                               ;   in Loop: Header=BB16_21 Depth=2
	v_add_nc_u32_e32 v15, 1, v16
	s_mov_b32 s31, -1
	s_mov_b32 s27, -1
	s_mov_b32 s26, exec_lo
	s_delay_alu instid0(VALU_DEP_1) | instskip(NEXT) | instid1(VALU_DEP_1)
	v_and_b32_e32 v15, 0x7f, v15
	v_lshl_add_u32 v17, v15, 2, v19
	ds_load_b32 v20, v17
	s_wait_dscnt 0x0
	v_cmpx_ne_u32_e64 v20, v11
	s_cbranch_execz .LBB16_18
; %bb.24:                               ;   in Loop: Header=BB16_21 Depth=2
	ds_cmpstore_rtn_b32 v17, v17, v11, v13
	s_mov_b32 s33, 0
	s_mov_b32 s27, exec_lo
	s_wait_dscnt 0x0
	v_cmpx_ne_u32_e32 -1, v17
	s_cbranch_execz .LBB16_17
; %bb.25:                               ;   in Loop: Header=BB16_21 Depth=2
	v_add_nc_u32_e32 v15, 2, v16
	s_mov_b32 s34, -1
	s_mov_b32 s33, -1
	s_mov_b32 s31, exec_lo
	s_delay_alu instid0(VALU_DEP_1) | instskip(NEXT) | instid1(VALU_DEP_1)
	v_and_b32_e32 v15, 0x7f, v15
	v_lshl_add_u32 v17, v15, 2, v19
	ds_load_b32 v20, v17
	s_wait_dscnt 0x0
	v_cmpx_ne_u32_e64 v20, v11
	s_cbranch_execz .LBB16_16
; %bb.26:                               ;   in Loop: Header=BB16_21 Depth=2
	ds_cmpstore_rtn_b32 v17, v17, v11, v13
	s_mov_b32 s35, 0
	s_mov_b32 s33, exec_lo
	s_wait_dscnt 0x0
	v_cmpx_ne_u32_e32 -1, v17
	s_cbranch_execz .LBB16_15
; %bb.27:                               ;   in Loop: Header=BB16_21 Depth=2
	v_add_nc_u32_e32 v15, 3, v16
	s_mov_b32 s36, -1
	s_mov_b32 s35, -1
	s_delay_alu instid0(VALU_DEP_1) | instskip(NEXT) | instid1(VALU_DEP_1)
	v_and_b32_e32 v15, 0x7f, v15
	v_lshl_add_u32 v17, v15, 2, v19
	ds_load_b32 v16, v17
	s_wait_dscnt 0x0
	v_cmp_ne_u32_e32 vcc_lo, v16, v11
                                        ; implicit-def: $vgpr16
	s_and_saveexec_b32 s34, vcc_lo
	s_cbranch_execz .LBB16_14
; %bb.28:                               ;   in Loop: Header=BB16_21 Depth=2
	ds_cmpstore_rtn_b32 v16, v17, v11, v13
	s_mov_b32 s35, 0
	s_wait_dscnt 0x0
	v_cmp_ne_u32_e32 vcc_lo, -1, v16
                                        ; implicit-def: $vgpr16
	s_and_saveexec_b32 s37, vcc_lo
	s_cbranch_execz .LBB16_13
; %bb.29:                               ;   in Loop: Header=BB16_21 Depth=2
	v_add_nc_u32_e32 v14, -4, v14
	v_add_nc_u32_e32 v16, 1, v15
	s_mov_b32 s35, exec_lo
	s_delay_alu instid0(VALU_DEP_2)
	v_cmp_eq_u32_e32 vcc_lo, 0, v14
	s_or_not1_b32 s36, vcc_lo, exec_lo
	s_branch .LBB16_13
.LBB16_30:                              ;   in Loop: Header=BB16_12 Depth=1
	s_or_b32 exec_lo, exec_lo, s14
	s_xor_b32 s14, s15, -1
	s_delay_alu instid0(SALU_CYCLE_1) | instskip(NEXT) | instid1(SALU_CYCLE_1)
	s_and_saveexec_b32 s15, s14
	s_xor_b32 s14, exec_lo, s15
	s_cbranch_execz .LBB16_11
; %bb.31:                               ;   in Loop: Header=BB16_12 Depth=1
	v_lshl_add_u32 v11, v15, 2, v0
	ds_store_b32 v11, v10
	s_branch .LBB16_11
.LBB16_32:
	s_wait_alu 0xfffe
	s_or_b32 exec_lo, exec_lo, s2
	s_delay_alu instid0(SALU_CYCLE_1)
	s_mov_b32 s2, exec_lo
	s_wait_loadcnt_dscnt 0x0
	global_inv scope:SCOPE_SE
	v_cmpx_lt_i32_e64 v9, v8
	s_cbranch_execz .LBB16_62
; %bb.33:
	v_add_nc_u32_e32 v20, 1, v18
	s_mov_b32 s3, 0
	s_branch .LBB16_36
.LBB16_34:                              ;   in Loop: Header=BB16_36 Depth=1
	s_or_b32 exec_lo, exec_lo, s15
	v_add_nc_u32_e32 v9, 1, v9
	s_delay_alu instid0(VALU_DEP_1)
	v_cmp_ge_i32_e32 vcc_lo, v9, v8
	s_or_not1_b32 s15, vcc_lo, exec_lo
.LBB16_35:                              ;   in Loop: Header=BB16_36 Depth=1
	s_or_b32 exec_lo, exec_lo, s14
	s_delay_alu instid0(SALU_CYCLE_1)
	s_and_b32 s14, exec_lo, s15
	s_wait_alu 0xfffe
	s_or_b32 s3, s14, s3
	s_wait_alu 0xfffe
	s_and_not1_b32 exec_lo, exec_lo, s3
	s_cbranch_execz .LBB16_62
.LBB16_36:                              ; =>This Loop Header: Depth=1
                                        ;     Child Loop BB16_37 Depth 2
                                        ;     Child Loop BB16_42 Depth 2
                                        ;       Child Loop BB16_51 Depth 3
	v_ashrrev_i32_e32 v10, 31, v9
	s_mov_b32 s14, 0
	s_delay_alu instid0(VALU_DEP_1) | instskip(SKIP_1) | instid1(VALU_DEP_2)
	v_lshlrev_b64_e32 v[11:12], 2, v[9:10]
	v_lshlrev_b64_e32 v[13:14], 3, v[9:10]
	v_add_co_u32 v11, vcc_lo, s6, v11
	s_wait_alu 0xfffd
	s_delay_alu instid0(VALU_DEP_3) | instskip(NEXT) | instid1(VALU_DEP_3)
	v_add_co_ci_u32_e64 v12, null, s7, v12, vcc_lo
	v_add_co_u32 v13, vcc_lo, s8, v13
	s_wait_alu 0xfffd
	v_add_co_ci_u32_e64 v14, null, s9, v14, vcc_lo
	global_load_b32 v11, v[11:12], off
	s_wait_loadcnt 0x0
	v_subrev_nc_u32_e32 v11, s28, v11
	s_delay_alu instid0(VALU_DEP_1) | instskip(NEXT) | instid1(VALU_DEP_1)
	v_ashrrev_i32_e32 v12, 31, v11
	v_lshlrev_b64_e32 v[15:16], 2, v[11:12]
	s_delay_alu instid0(VALU_DEP_1) | instskip(SKIP_1) | instid1(VALU_DEP_2)
	v_add_co_u32 v21, vcc_lo, s4, v15
	s_wait_alu 0xfffd
	v_add_co_ci_u32_e64 v22, null, s5, v16, vcc_lo
	v_add_co_u32 v23, vcc_lo, s10, v15
	s_wait_alu 0xfffd
	v_add_co_ci_u32_e64 v24, null, s11, v16, vcc_lo
	global_load_b64 v[10:11], v[13:14], off
	global_load_b32 v12, v[21:22], off offset:4
	global_load_b32 v17, v[23:24], off
	v_add_co_u32 v15, vcc_lo, s12, v15
	s_wait_alu 0xfffd
	v_add_co_ci_u32_e64 v16, null, s13, v16, vcc_lo
.LBB16_37:                              ;   Parent Loop BB16_36 Depth=1
                                        ; =>  This Inner Loop Header: Depth=2
	global_load_b32 v21, v[15:16], off scope:SCOPE_DEV
	s_wait_loadcnt 0x0
	v_cmp_ne_u32_e32 vcc_lo, 0, v21
	s_or_b32 s14, vcc_lo, s14
	s_delay_alu instid0(SALU_CYCLE_1)
	s_and_not1_b32 exec_lo, exec_lo, s14
	s_cbranch_execnz .LBB16_37
; %bb.38:                               ;   in Loop: Header=BB16_36 Depth=1
	s_or_b32 exec_lo, exec_lo, s14
	v_subrev_nc_u32_e32 v21, s28, v12
	v_cmp_eq_u32_e32 vcc_lo, -1, v17
	global_inv scope:SCOPE_DEV
	s_mov_b32 s15, -1
	s_mov_b32 s14, exec_lo
	v_add_nc_u32_e32 v12, -1, v21
	s_wait_alu 0xfffd
	s_delay_alu instid0(VALU_DEP_1) | instskip(NEXT) | instid1(VALU_DEP_1)
	v_cndmask_b32_e32 v15, v17, v12, vcc_lo
	v_ashrrev_i32_e32 v16, 31, v15
	s_delay_alu instid0(VALU_DEP_1) | instskip(NEXT) | instid1(VALU_DEP_1)
	v_lshlrev_b64_e32 v[16:17], 3, v[15:16]
	v_add_co_u32 v16, vcc_lo, s8, v16
	s_wait_alu 0xfffd
	s_delay_alu instid0(VALU_DEP_2)
	v_add_co_ci_u32_e64 v17, null, s9, v17, vcc_lo
	global_load_b64 v[16:17], v[16:17], off
	s_wait_loadcnt 0x0
	v_cmpx_neq_f64_e32 0, v[16:17]
	s_cbranch_execz .LBB16_35
; %bb.39:                               ;   in Loop: Header=BB16_36 Depth=1
	v_div_scale_f64 v[22:23], null, v[16:17], v[16:17], v[10:11]
	v_add_nc_u32_e32 v12, v20, v15
	s_mov_b32 s15, exec_lo
	s_delay_alu instid0(VALU_DEP_2) | instskip(NEXT) | instid1(TRANS32_DEP_1)
	v_rcp_f64_e32 v[24:25], v[22:23]
	v_fma_f64 v[26:27], -v[22:23], v[24:25], 1.0
	s_delay_alu instid0(VALU_DEP_1) | instskip(NEXT) | instid1(VALU_DEP_1)
	v_fma_f64 v[24:25], v[24:25], v[26:27], v[24:25]
	v_fma_f64 v[26:27], -v[22:23], v[24:25], 1.0
	s_delay_alu instid0(VALU_DEP_1) | instskip(SKIP_1) | instid1(VALU_DEP_1)
	v_fma_f64 v[24:25], v[24:25], v[26:27], v[24:25]
	v_div_scale_f64 v[26:27], vcc_lo, v[10:11], v[16:17], v[10:11]
	v_mul_f64_e32 v[28:29], v[26:27], v[24:25]
	s_delay_alu instid0(VALU_DEP_1) | instskip(SKIP_1) | instid1(VALU_DEP_1)
	v_fma_f64 v[22:23], -v[22:23], v[28:29], v[26:27]
	s_wait_alu 0xfffd
	v_div_fmas_f64 v[22:23], v[22:23], v[24:25], v[28:29]
	s_delay_alu instid0(VALU_DEP_1)
	v_div_fixup_f64 v[10:11], v[22:23], v[16:17], v[10:11]
	global_store_b64 v[13:14], v[10:11], off
	v_cmpx_lt_i32_e64 v12, v21
	s_cbranch_execz .LBB16_34
; %bb.40:                               ;   in Loop: Header=BB16_36 Depth=1
	s_mov_b32 s22, 0
	s_branch .LBB16_42
.LBB16_41:                              ;   in Loop: Header=BB16_42 Depth=2
	s_or_b32 exec_lo, exec_lo, s23
	v_add_nc_u32_e32 v12, 32, v12
	s_delay_alu instid0(VALU_DEP_1) | instskip(SKIP_1) | instid1(SALU_CYCLE_1)
	v_cmp_ge_i32_e32 vcc_lo, v12, v21
	s_or_b32 s22, vcc_lo, s22
	s_and_not1_b32 exec_lo, exec_lo, s22
	s_cbranch_execz .LBB16_34
.LBB16_42:                              ;   Parent Loop BB16_36 Depth=1
                                        ; =>  This Loop Header: Depth=2
                                        ;       Child Loop BB16_51 Depth 3
	v_ashrrev_i32_e32 v13, 31, v12
	s_mov_b32 s23, 0
                                        ; implicit-def: $sgpr24
                                        ; implicit-def: $sgpr25
                                        ; implicit-def: $sgpr26
	s_delay_alu instid0(VALU_DEP_1) | instskip(NEXT) | instid1(VALU_DEP_1)
	v_lshlrev_b64_e32 v[14:15], 2, v[12:13]
	v_add_co_u32 v14, vcc_lo, s6, v14
	s_wait_alu 0xfffd
	s_delay_alu instid0(VALU_DEP_2)
	v_add_co_ci_u32_e64 v15, null, s7, v15, vcc_lo
	global_load_b32 v14, v[14:15], off
	v_mov_b32_e32 v15, 0x80
	s_wait_loadcnt 0x0
	v_mul_lo_u32 v17, 0x67, v14
	s_branch .LBB16_51
.LBB16_43:                              ;   in Loop: Header=BB16_51 Depth=3
	s_or_b32 exec_lo, exec_lo, s40
	s_delay_alu instid0(SALU_CYCLE_1)
	s_or_not1_b32 s38, s38, exec_lo
	s_or_not1_b32 s39, s39, exec_lo
.LBB16_44:                              ;   in Loop: Header=BB16_51 Depth=3
	s_or_b32 exec_lo, exec_lo, s37
	s_delay_alu instid0(SALU_CYCLE_1)
	s_and_b32 s38, s38, exec_lo
	s_or_not1_b32 s37, s39, exec_lo
.LBB16_45:                              ;   in Loop: Header=BB16_51 Depth=3
	s_or_b32 exec_lo, exec_lo, s36
	s_delay_alu instid0(SALU_CYCLE_1)
	s_or_not1_b32 s36, s38, exec_lo
	s_or_not1_b32 s37, s37, exec_lo
.LBB16_46:                              ;   in Loop: Header=BB16_51 Depth=3
	s_or_b32 exec_lo, exec_lo, s35
	s_delay_alu instid0(SALU_CYCLE_1)
	s_and_b32 s36, s36, exec_lo
	s_or_not1_b32 s35, s37, exec_lo
.LBB16_47:                              ;   in Loop: Header=BB16_51 Depth=3
	s_or_b32 exec_lo, exec_lo, s34
	s_delay_alu instid0(SALU_CYCLE_1)
	s_or_not1_b32 s34, s36, exec_lo
	s_or_not1_b32 s35, s35, exec_lo
.LBB16_48:                              ;   in Loop: Header=BB16_51 Depth=3
	s_or_b32 exec_lo, exec_lo, s33
	s_delay_alu instid0(SALU_CYCLE_1)
	s_and_b32 s34, s34, exec_lo
	s_or_not1_b32 s33, s35, exec_lo
.LBB16_49:                              ;   in Loop: Header=BB16_51 Depth=3
	s_or_b32 exec_lo, exec_lo, s31
	s_wait_alu 0xfffe
	s_and_not1_b32 s26, s26, exec_lo
	s_and_b32 s31, s34, exec_lo
	s_and_not1_b32 s25, s25, exec_lo
	s_and_b32 s33, s33, exec_lo
	s_wait_alu 0xfffe
	s_or_b32 s26, s26, s31
	s_or_b32 s25, s25, s33
.LBB16_50:                              ;   in Loop: Header=BB16_51 Depth=3
	s_wait_alu 0xfffe
	s_or_b32 exec_lo, exec_lo, s27
	s_delay_alu instid0(SALU_CYCLE_1)
	s_and_b32 s27, exec_lo, s25
	s_wait_alu 0xfffe
	s_or_b32 s23, s27, s23
	s_and_not1_b32 s24, s24, exec_lo
	s_and_b32 s27, s26, exec_lo
	s_wait_alu 0xfffe
	s_or_b32 s24, s24, s27
	s_and_not1_b32 exec_lo, exec_lo, s23
	s_cbranch_execz .LBB16_60
.LBB16_51:                              ;   Parent Loop BB16_36 Depth=1
                                        ;     Parent Loop BB16_42 Depth=2
                                        ; =>    This Inner Loop Header: Depth=3
	s_delay_alu instid0(VALU_DEP_1) | instskip(SKIP_3) | instid1(VALU_DEP_1)
	v_and_b32_e32 v16, 0x7f, v17
	s_or_b32 s26, s26, exec_lo
	s_or_b32 s25, s25, exec_lo
	s_mov_b32 s27, exec_lo
	v_lshl_add_u32 v22, v16, 2, v19
	ds_load_b32 v22, v22
	s_wait_dscnt 0x0
	v_cmpx_ne_u32_e32 -1, v22
	s_cbranch_execz .LBB16_50
; %bb.52:                               ;   in Loop: Header=BB16_51 Depth=3
	s_mov_b32 s33, -1
	s_mov_b32 s34, 0
	s_mov_b32 s31, exec_lo
	v_cmpx_ne_u32_e64 v22, v14
	s_cbranch_execz .LBB16_49
; %bb.53:                               ;   in Loop: Header=BB16_51 Depth=3
	v_add_nc_u32_e32 v16, 1, v17
	s_mov_b32 s35, -1
	s_mov_b32 s34, -1
	s_mov_b32 s33, exec_lo
	s_delay_alu instid0(VALU_DEP_1) | instskip(NEXT) | instid1(VALU_DEP_1)
	v_and_b32_e32 v16, 0x7f, v16
	v_lshl_add_u32 v22, v16, 2, v19
	ds_load_b32 v22, v22
	s_wait_dscnt 0x0
	v_cmpx_ne_u32_e32 -1, v22
	s_cbranch_execz .LBB16_48
; %bb.54:                               ;   in Loop: Header=BB16_51 Depth=3
	s_mov_b32 s36, 0
	s_mov_b32 s34, exec_lo
	v_cmpx_ne_u32_e64 v22, v14
	s_cbranch_execz .LBB16_47
; %bb.55:                               ;   in Loop: Header=BB16_51 Depth=3
	v_add_nc_u32_e32 v16, 2, v17
	s_mov_b32 s37, -1
	s_mov_b32 s36, -1
	s_mov_b32 s35, exec_lo
	s_delay_alu instid0(VALU_DEP_1) | instskip(NEXT) | instid1(VALU_DEP_1)
	v_and_b32_e32 v16, 0x7f, v16
	v_lshl_add_u32 v22, v16, 2, v19
	ds_load_b32 v22, v22
	s_wait_dscnt 0x0
	v_cmpx_ne_u32_e32 -1, v22
	s_cbranch_execz .LBB16_46
; %bb.56:                               ;   in Loop: Header=BB16_51 Depth=3
	s_mov_b32 s38, 0
	s_mov_b32 s36, exec_lo
	v_cmpx_ne_u32_e64 v22, v14
	s_cbranch_execz .LBB16_45
; %bb.57:                               ;   in Loop: Header=BB16_51 Depth=3
	v_add_nc_u32_e32 v16, 3, v17
	s_mov_b32 s39, -1
	s_mov_b32 s38, -1
	s_mov_b32 s37, exec_lo
	s_delay_alu instid0(VALU_DEP_1) | instskip(NEXT) | instid1(VALU_DEP_1)
	v_and_b32_e32 v16, 0x7f, v16
	v_lshl_add_u32 v17, v16, 2, v19
	ds_load_b32 v22, v17
                                        ; implicit-def: $vgpr17
	s_wait_dscnt 0x0
	v_cmpx_ne_u32_e32 -1, v22
	s_cbranch_execz .LBB16_44
; %bb.58:                               ;   in Loop: Header=BB16_51 Depth=3
	s_mov_b32 s38, 0
	s_mov_b32 s40, exec_lo
                                        ; implicit-def: $vgpr17
	v_cmpx_ne_u32_e64 v22, v14
	s_cbranch_execz .LBB16_43
; %bb.59:                               ;   in Loop: Header=BB16_51 Depth=3
	v_add_nc_u32_e32 v15, -4, v15
	v_add_nc_u32_e32 v17, 1, v16
	s_mov_b32 s38, exec_lo
	s_delay_alu instid0(VALU_DEP_2)
	v_cmp_eq_u32_e32 vcc_lo, 0, v15
	s_or_not1_b32 s39, vcc_lo, exec_lo
	s_branch .LBB16_43
.LBB16_60:                              ;   in Loop: Header=BB16_42 Depth=2
	s_or_b32 exec_lo, exec_lo, s23
	s_wait_alu 0xfffe
	s_xor_b32 s23, s24, -1
	s_delay_alu instid0(SALU_CYCLE_1)
	s_and_saveexec_b32 s24, s23
	s_wait_alu 0xfffe
	s_xor_b32 s23, exec_lo, s24
	s_cbranch_execz .LBB16_41
; %bb.61:                               ;   in Loop: Header=BB16_42 Depth=2
	v_lshl_add_u32 v14, v16, 2, v0
	v_lshlrev_b64_e32 v[16:17], 3, v[12:13]
	ds_load_b32 v14, v14
	s_wait_dscnt 0x0
	v_ashrrev_i32_e32 v15, 31, v14
	s_delay_alu instid0(VALU_DEP_1) | instskip(SKIP_3) | instid1(VALU_DEP_3)
	v_lshlrev_b64_e32 v[13:14], 3, v[14:15]
	v_add_co_u32 v15, vcc_lo, s8, v16
	s_wait_alu 0xfffd
	v_add_co_ci_u32_e64 v16, null, s9, v17, vcc_lo
	v_add_co_u32 v13, vcc_lo, s8, v13
	s_wait_alu 0xfffd
	v_add_co_ci_u32_e64 v14, null, s9, v14, vcc_lo
	s_clause 0x1
	global_load_b64 v[15:16], v[15:16], off
	global_load_b64 v[22:23], v[13:14], off
	s_wait_loadcnt 0x0
	v_fma_f64 v[15:16], -v[10:11], v[15:16], v[22:23]
	global_store_b64 v[13:14], v[15:16], off
	s_branch .LBB16_41
.LBB16_62:
	s_wait_alu 0xfffe
	s_or_b32 exec_lo, exec_lo, s2
	s_mov_b32 s4, -1
	s_mov_b32 s3, exec_lo
	s_wait_loadcnt 0x0
	s_wait_storecnt 0x0
	global_inv scope:SCOPE_SE
	v_cmpx_lt_i32_e32 -1, v8
	s_cbranch_execz .LBB16_78
; %bb.63:
	v_mov_b32_e32 v9, 0
	v_cmp_eq_u32_e64 s2, 0, v18
	s_delay_alu instid0(VALU_DEP_2) | instskip(NEXT) | instid1(VALU_DEP_1)
	v_lshlrev_b64_e32 v[8:9], 3, v[8:9]
	v_add_co_u32 v12, vcc_lo, s8, v8
	s_wait_alu 0xfffd
	s_delay_alu instid0(VALU_DEP_2)
	v_add_co_ci_u32_e64 v13, null, s9, v9, vcc_lo
	global_load_b64 v[8:9], v[12:13], off
	s_wait_loadcnt 0x0
	v_cmp_gt_f64_e32 vcc_lo, 0, v[8:9]
	v_xor_b32_e32 v0, 0x80000000, v9
	s_wait_alu 0xfffd
	s_delay_alu instid0(VALU_DEP_1)
	v_dual_mov_b32 v10, v8 :: v_dual_cndmask_b32 v11, v9, v0
	s_and_not1_b32 vcc_lo, exec_lo, s29
	s_wait_alu 0xfffe
	s_cbranch_vccnz .LBB16_67
; %bb.64:
	v_cvt_f64_f32_e32 v[14:15], s30
	s_cmp_eq_u64 s[20:21], 8
	s_cselect_b32 vcc_lo, -1, 0
	s_wait_alu 0xfffe
	s_delay_alu instid0(VALU_DEP_1) | instskip(NEXT) | instid1(VALU_DEP_1)
	v_dual_cndmask_b32 v4, v15, v4 :: v_dual_cndmask_b32 v3, v14, v3
	v_cmp_le_f64_e32 vcc_lo, v[10:11], v[3:4]
	s_and_b32 s5, s2, vcc_lo
	s_wait_alu 0xfffe
	s_and_saveexec_b32 s4, s5
	s_cbranch_execz .LBB16_66
; %bb.65:
	global_store_b64 v[12:13], v[5:6], off
	s_wait_storecnt 0x0
	global_inv scope:SCOPE_DEV
.LBB16_66:
	s_wait_alu 0xfffe
	s_or_b32 exec_lo, exec_lo, s4
	s_mov_b32 s4, 0
.LBB16_67:
	s_wait_alu 0xfffe
	s_and_not1_b32 vcc_lo, exec_lo, s4
	s_wait_alu 0xfffe
	s_cbranch_vccnz .LBB16_78
; %bb.68:
	s_load_b64 s[0:1], s[0:1], 0x48
	v_add_nc_u32_e32 v0, s28, v7
	s_wait_kmcnt 0x0
	v_cmp_ge_f64_e32 vcc_lo, s[0:1], v[10:11]
	s_and_b32 s1, s2, vcc_lo
	s_wait_alu 0xfffe
	s_and_saveexec_b32 s0, s1
	s_cbranch_execz .LBB16_73
; %bb.69:
	s_mov_b32 s4, exec_lo
	s_brev_b32 s1, -2
.LBB16_70:                              ; =>This Inner Loop Header: Depth=1
	s_wait_alu 0xfffe
	s_ctz_i32_b32 s5, s4
	s_wait_alu 0xfffe
	v_readlane_b32 s6, v0, s5
	s_lshl_b32 s5, 1, s5
	s_wait_alu 0xfffe
	s_and_not1_b32 s4, s4, s5
	s_min_i32 s1, s1, s6
	s_wait_alu 0xfffe
	s_cmp_lg_u32 s4, 0
	s_cbranch_scc1 .LBB16_70
; %bb.71:
	v_mbcnt_lo_u32_b32 v3, exec_lo, 0
	s_mov_b32 s4, exec_lo
	s_delay_alu instid0(VALU_DEP_1)
	v_cmpx_eq_u32_e32 0, v3
	s_wait_alu 0xfffe
	s_xor_b32 s4, exec_lo, s4
	s_cbranch_execz .LBB16_73
; %bb.72:
	v_dual_mov_b32 v3, 0 :: v_dual_mov_b32 v4, s1
	global_atomic_min_i32 v3, v4, s[18:19] scope:SCOPE_DEV
.LBB16_73:
	s_wait_alu 0xfffe
	s_or_b32 exec_lo, exec_lo, s0
	v_cmp_eq_f64_e32 vcc_lo, 0, v[8:9]
	s_and_b32 s0, s2, vcc_lo
	s_wait_alu 0xfffe
	s_and_b32 exec_lo, exec_lo, s0
	s_cbranch_execz .LBB16_78
; %bb.74:
	s_mov_b32 s1, exec_lo
	s_brev_b32 s0, -2
.LBB16_75:                              ; =>This Inner Loop Header: Depth=1
	s_wait_alu 0xfffe
	s_ctz_i32_b32 s2, s1
	s_wait_alu 0xfffe
	v_readlane_b32 s4, v0, s2
	s_lshl_b32 s2, 1, s2
	s_wait_alu 0xfffe
	s_and_not1_b32 s1, s1, s2
	s_min_i32 s0, s0, s4
	s_wait_alu 0xfffe
	s_cmp_lg_u32 s1, 0
	s_cbranch_scc1 .LBB16_75
; %bb.76:
	v_mbcnt_lo_u32_b32 v0, exec_lo, 0
	s_mov_b32 s1, exec_lo
	s_delay_alu instid0(VALU_DEP_1)
	v_cmpx_eq_u32_e32 0, v0
	s_wait_alu 0xfffe
	s_xor_b32 s1, exec_lo, s1
	s_cbranch_execz .LBB16_78
; %bb.77:
	v_dual_mov_b32 v0, 0 :: v_dual_mov_b32 v3, s0
	global_atomic_min_i32 v0, v3, s[16:17] scope:SCOPE_DEV
.LBB16_78:
	s_wait_alu 0xfffe
	s_or_b32 exec_lo, exec_lo, s3
	v_cmp_eq_u32_e32 vcc_lo, 0, v18
	s_wait_loadcnt 0x0
	s_wait_storecnt 0x0
	global_inv scope:SCOPE_DEV
	s_and_b32 exec_lo, exec_lo, vcc_lo
	s_cbranch_execz .LBB16_80
; %bb.79:
	v_add_co_u32 v0, vcc_lo, s12, v1
	s_wait_alu 0xfffd
	v_add_co_ci_u32_e64 v1, null, s13, v2, vcc_lo
	v_mov_b32_e32 v2, 1
	s_wait_loadcnt 0x0
	global_store_b32 v[0:1], v2, off scope:SCOPE_DEV
.LBB16_80:
	s_endpgm
	.section	.rodata,"a",@progbits
	.p2align	6, 0x0
	.amdhsa_kernel _ZN9rocsparseL12csrilu0_hashILj256ELj32ELj4EdEEviPKiS2_PT2_S2_PiS2_S5_S5_d21rocsparse_index_base_imNS_24const_host_device_scalarIfEENS7_IdEENS7_IS3_EEb
		.amdhsa_group_segment_fixed_size 8192
		.amdhsa_private_segment_fixed_size 0
		.amdhsa_kernarg_size 124
		.amdhsa_user_sgpr_count 2
		.amdhsa_user_sgpr_dispatch_ptr 0
		.amdhsa_user_sgpr_queue_ptr 0
		.amdhsa_user_sgpr_kernarg_segment_ptr 1
		.amdhsa_user_sgpr_dispatch_id 0
		.amdhsa_user_sgpr_private_segment_size 0
		.amdhsa_wavefront_size32 1
		.amdhsa_uses_dynamic_stack 0
		.amdhsa_enable_private_segment 0
		.amdhsa_system_sgpr_workgroup_id_x 1
		.amdhsa_system_sgpr_workgroup_id_y 0
		.amdhsa_system_sgpr_workgroup_id_z 0
		.amdhsa_system_sgpr_workgroup_info 0
		.amdhsa_system_vgpr_workitem_id 0
		.amdhsa_next_free_vgpr 30
		.amdhsa_next_free_sgpr 41
		.amdhsa_reserve_vcc 1
		.amdhsa_float_round_mode_32 0
		.amdhsa_float_round_mode_16_64 0
		.amdhsa_float_denorm_mode_32 3
		.amdhsa_float_denorm_mode_16_64 3
		.amdhsa_fp16_overflow 0
		.amdhsa_workgroup_processor_mode 1
		.amdhsa_memory_ordered 1
		.amdhsa_forward_progress 1
		.amdhsa_inst_pref_size 26
		.amdhsa_round_robin_scheduling 0
		.amdhsa_exception_fp_ieee_invalid_op 0
		.amdhsa_exception_fp_denorm_src 0
		.amdhsa_exception_fp_ieee_div_zero 0
		.amdhsa_exception_fp_ieee_overflow 0
		.amdhsa_exception_fp_ieee_underflow 0
		.amdhsa_exception_fp_ieee_inexact 0
		.amdhsa_exception_int_div_zero 0
	.end_amdhsa_kernel
	.section	.text._ZN9rocsparseL12csrilu0_hashILj256ELj32ELj4EdEEviPKiS2_PT2_S2_PiS2_S5_S5_d21rocsparse_index_base_imNS_24const_host_device_scalarIfEENS7_IdEENS7_IS3_EEb,"axG",@progbits,_ZN9rocsparseL12csrilu0_hashILj256ELj32ELj4EdEEviPKiS2_PT2_S2_PiS2_S5_S5_d21rocsparse_index_base_imNS_24const_host_device_scalarIfEENS7_IdEENS7_IS3_EEb,comdat
.Lfunc_end16:
	.size	_ZN9rocsparseL12csrilu0_hashILj256ELj32ELj4EdEEviPKiS2_PT2_S2_PiS2_S5_S5_d21rocsparse_index_base_imNS_24const_host_device_scalarIfEENS7_IdEENS7_IS3_EEb, .Lfunc_end16-_ZN9rocsparseL12csrilu0_hashILj256ELj32ELj4EdEEviPKiS2_PT2_S2_PiS2_S5_S5_d21rocsparse_index_base_imNS_24const_host_device_scalarIfEENS7_IdEENS7_IS3_EEb
                                        ; -- End function
	.set _ZN9rocsparseL12csrilu0_hashILj256ELj32ELj4EdEEviPKiS2_PT2_S2_PiS2_S5_S5_d21rocsparse_index_base_imNS_24const_host_device_scalarIfEENS7_IdEENS7_IS3_EEb.num_vgpr, 30
	.set _ZN9rocsparseL12csrilu0_hashILj256ELj32ELj4EdEEviPKiS2_PT2_S2_PiS2_S5_S5_d21rocsparse_index_base_imNS_24const_host_device_scalarIfEENS7_IdEENS7_IS3_EEb.num_agpr, 0
	.set _ZN9rocsparseL12csrilu0_hashILj256ELj32ELj4EdEEviPKiS2_PT2_S2_PiS2_S5_S5_d21rocsparse_index_base_imNS_24const_host_device_scalarIfEENS7_IdEENS7_IS3_EEb.numbered_sgpr, 41
	.set _ZN9rocsparseL12csrilu0_hashILj256ELj32ELj4EdEEviPKiS2_PT2_S2_PiS2_S5_S5_d21rocsparse_index_base_imNS_24const_host_device_scalarIfEENS7_IdEENS7_IS3_EEb.num_named_barrier, 0
	.set _ZN9rocsparseL12csrilu0_hashILj256ELj32ELj4EdEEviPKiS2_PT2_S2_PiS2_S5_S5_d21rocsparse_index_base_imNS_24const_host_device_scalarIfEENS7_IdEENS7_IS3_EEb.private_seg_size, 0
	.set _ZN9rocsparseL12csrilu0_hashILj256ELj32ELj4EdEEviPKiS2_PT2_S2_PiS2_S5_S5_d21rocsparse_index_base_imNS_24const_host_device_scalarIfEENS7_IdEENS7_IS3_EEb.uses_vcc, 1
	.set _ZN9rocsparseL12csrilu0_hashILj256ELj32ELj4EdEEviPKiS2_PT2_S2_PiS2_S5_S5_d21rocsparse_index_base_imNS_24const_host_device_scalarIfEENS7_IdEENS7_IS3_EEb.uses_flat_scratch, 0
	.set _ZN9rocsparseL12csrilu0_hashILj256ELj32ELj4EdEEviPKiS2_PT2_S2_PiS2_S5_S5_d21rocsparse_index_base_imNS_24const_host_device_scalarIfEENS7_IdEENS7_IS3_EEb.has_dyn_sized_stack, 0
	.set _ZN9rocsparseL12csrilu0_hashILj256ELj32ELj4EdEEviPKiS2_PT2_S2_PiS2_S5_S5_d21rocsparse_index_base_imNS_24const_host_device_scalarIfEENS7_IdEENS7_IS3_EEb.has_recursion, 0
	.set _ZN9rocsparseL12csrilu0_hashILj256ELj32ELj4EdEEviPKiS2_PT2_S2_PiS2_S5_S5_d21rocsparse_index_base_imNS_24const_host_device_scalarIfEENS7_IdEENS7_IS3_EEb.has_indirect_call, 0
	.section	.AMDGPU.csdata,"",@progbits
; Kernel info:
; codeLenInByte = 3264
; TotalNumSgprs: 43
; NumVgprs: 30
; ScratchSize: 0
; MemoryBound: 0
; FloatMode: 240
; IeeeMode: 1
; LDSByteSize: 8192 bytes/workgroup (compile time only)
; SGPRBlocks: 0
; VGPRBlocks: 3
; NumSGPRsForWavesPerEU: 43
; NumVGPRsForWavesPerEU: 30
; Occupancy: 16
; WaveLimiterHint : 1
; COMPUTE_PGM_RSRC2:SCRATCH_EN: 0
; COMPUTE_PGM_RSRC2:USER_SGPR: 2
; COMPUTE_PGM_RSRC2:TRAP_HANDLER: 0
; COMPUTE_PGM_RSRC2:TGID_X_EN: 1
; COMPUTE_PGM_RSRC2:TGID_Y_EN: 0
; COMPUTE_PGM_RSRC2:TGID_Z_EN: 0
; COMPUTE_PGM_RSRC2:TIDIG_COMP_CNT: 0
	.section	.text._ZN9rocsparseL12csrilu0_hashILj256ELj32ELj8EdEEviPKiS2_PT2_S2_PiS2_S5_S5_d21rocsparse_index_base_imNS_24const_host_device_scalarIfEENS7_IdEENS7_IS3_EEb,"axG",@progbits,_ZN9rocsparseL12csrilu0_hashILj256ELj32ELj8EdEEviPKiS2_PT2_S2_PiS2_S5_S5_d21rocsparse_index_base_imNS_24const_host_device_scalarIfEENS7_IdEENS7_IS3_EEb,comdat
	.globl	_ZN9rocsparseL12csrilu0_hashILj256ELj32ELj8EdEEviPKiS2_PT2_S2_PiS2_S5_S5_d21rocsparse_index_base_imNS_24const_host_device_scalarIfEENS7_IdEENS7_IS3_EEb ; -- Begin function _ZN9rocsparseL12csrilu0_hashILj256ELj32ELj8EdEEviPKiS2_PT2_S2_PiS2_S5_S5_d21rocsparse_index_base_imNS_24const_host_device_scalarIfEENS7_IdEENS7_IS3_EEb
	.p2align	8
	.type	_ZN9rocsparseL12csrilu0_hashILj256ELj32ELj8EdEEviPKiS2_PT2_S2_PiS2_S5_S5_d21rocsparse_index_base_imNS_24const_host_device_scalarIfEENS7_IdEENS7_IS3_EEb,@function
_ZN9rocsparseL12csrilu0_hashILj256ELj32ELj8EdEEviPKiS2_PT2_S2_PiS2_S5_S5_d21rocsparse_index_base_imNS_24const_host_device_scalarIfEENS7_IdEENS7_IS3_EEb: ; @_ZN9rocsparseL12csrilu0_hashILj256ELj32ELj8EdEEviPKiS2_PT2_S2_PiS2_S5_S5_d21rocsparse_index_base_imNS_24const_host_device_scalarIfEENS7_IdEENS7_IS3_EEb
; %bb.0:
	s_clause 0x2
	s_load_b32 s2, s[0:1], 0x78
	s_load_b64 s[28:29], s[0:1], 0x50
	s_load_b256 s[20:27], s[0:1], 0x58
	s_wait_kmcnt 0x0
	s_bitcmp1_b32 s2, 0
	s_cselect_b32 s2, -1, 0
	s_cmp_eq_u32 s29, 0
	s_cselect_b32 s4, -1, 0
	s_cmp_lg_u32 s29, 0
	s_cselect_b32 s29, -1, 0
	s_or_b32 s6, s4, s2
	s_delay_alu instid0(SALU_CYCLE_1)
	s_xor_b32 s5, s6, -1
	s_and_b32 s2, s4, exec_lo
	s_cselect_b32 s3, 0, s25
	s_cselect_b32 s2, 0, s24
	;; [unrolled: 1-line block ×3, first 2 shown]
	s_and_b32 vcc_lo, exec_lo, s6
	s_cbranch_vccnz .LBB17_2
; %bb.1:
	s_load_b32 s30, s[22:23], 0x0
	s_mov_b64 s[2:3], s[24:25]
.LBB17_2:
	v_cndmask_b32_e64 v1, 0, 1, s5
	v_dual_mov_b32 v4, s3 :: v_dual_mov_b32 v3, s2
	s_and_not1_b32 vcc_lo, exec_lo, s5
	s_cbranch_vccnz .LBB17_4
; %bb.3:
	v_dual_mov_b32 v2, s24 :: v_dual_mov_b32 v3, s25
	flat_load_b64 v[3:4], v[2:3]
.LBB17_4:
	s_and_b32 s2, s4, exec_lo
	s_cselect_b32 s3, 0, s27
	v_cmp_ne_u32_e32 vcc_lo, 1, v1
	s_cselect_b32 s2, 0, s26
	s_wait_alu 0xfffe
	v_dual_mov_b32 v6, s3 :: v_dual_mov_b32 v5, s2
	s_mov_b32 s2, 0
	s_cbranch_vccnz .LBB17_6
; %bb.5:
	v_dual_mov_b32 v1, s26 :: v_dual_mov_b32 v2, s27
	flat_load_b64 v[5:6], v[1:2]
.LBB17_6:
	v_lshrrev_b32_e32 v1, 5, v0
	v_and_b32_e32 v18, 31, v0
	s_delay_alu instid0(VALU_DEP_2) | instskip(NEXT) | instid1(VALU_DEP_2)
	v_lshlrev_b32_e32 v7, 10, v1
	v_lshlrev_b32_e32 v8, 2, v18
	v_or_b32_e32 v2, 0xffffffe0, v18
	s_delay_alu instid0(VALU_DEP_2)
	v_or3_b32 v7, v7, v8, 0x2000
	v_mov_b32_e32 v8, -1
.LBB17_7:                               ; =>This Inner Loop Header: Depth=1
	s_delay_alu instid0(VALU_DEP_3)
	v_add_nc_u32_e32 v2, 32, v2
	ds_store_b32 v7, v8
	v_add_nc_u32_e32 v7, 0x80, v7
	v_cmp_lt_u32_e32 vcc_lo, 0xdf, v2
	s_wait_alu 0xfffe
	s_or_b32 s2, vcc_lo, s2
	s_wait_alu 0xfffe
	s_and_not1_b32 exec_lo, exec_lo, s2
	s_cbranch_execnz .LBB17_7
; %bb.8:
	s_or_b32 exec_lo, exec_lo, s2
	s_load_b32 s2, s[0:1], 0x0
	s_lshl_b32 s3, ttmp9, 3
	s_wait_loadcnt_dscnt 0x0
	global_inv scope:SCOPE_SE
	s_wait_alu 0xfffe
	v_and_or_b32 v1, 0x7fffff8, s3, v1
	s_wait_kmcnt 0x0
	s_delay_alu instid0(VALU_DEP_1)
	v_cmp_gt_i32_e32 vcc_lo, s2, v1
	s_and_saveexec_b32 s2, vcc_lo
	s_cbranch_execz .LBB17_80
; %bb.9:
	s_load_b512 s[4:19], s[0:1], 0x8
	v_lshlrev_b32_e32 v1, 2, v1
	v_lshlrev_b32_e32 v0, 5, v0
	s_mov_b32 s2, exec_lo
	s_delay_alu instid0(VALU_DEP_1) | instskip(NEXT) | instid1(VALU_DEP_1)
	v_and_b32_e32 v0, 0x1c00, v0
	v_or_b32_e32 v19, 0x2000, v0
	s_wait_kmcnt 0x0
	global_load_b32 v7, v1, s[14:15]
	s_wait_loadcnt 0x0
	v_ashrrev_i32_e32 v8, 31, v7
	s_delay_alu instid0(VALU_DEP_1) | instskip(NEXT) | instid1(VALU_DEP_1)
	v_lshlrev_b64_e32 v[1:2], 2, v[7:8]
	v_add_co_u32 v8, vcc_lo, s4, v1
	s_delay_alu instid0(VALU_DEP_1)
	v_add_co_ci_u32_e64 v9, null, s5, v2, vcc_lo
	v_add_co_u32 v11, vcc_lo, s10, v1
	s_wait_alu 0xfffd
	v_add_co_ci_u32_e64 v12, null, s11, v2, vcc_lo
	global_load_b64 v[9:10], v[8:9], off
	global_load_b32 v8, v[11:12], off
	s_wait_loadcnt 0x1
	v_subrev_nc_u32_e32 v9, s28, v9
	v_subrev_nc_u32_e32 v12, s28, v10
	s_delay_alu instid0(VALU_DEP_2) | instskip(NEXT) | instid1(VALU_DEP_1)
	v_add_nc_u32_e32 v10, v9, v18
	v_cmpx_lt_i32_e64 v10, v12
	s_cbranch_execz .LBB17_32
; %bb.10:
	v_mov_b32_e32 v13, -1
	s_mov_b32 s3, 0
	s_branch .LBB17_12
.LBB17_11:                              ;   in Loop: Header=BB17_12 Depth=1
	s_or_b32 exec_lo, exec_lo, s14
	v_add_nc_u32_e32 v10, 32, v10
	s_delay_alu instid0(VALU_DEP_1)
	v_cmp_ge_i32_e32 vcc_lo, v10, v12
	s_or_b32 s3, vcc_lo, s3
	s_wait_alu 0xfffe
	s_and_not1_b32 exec_lo, exec_lo, s3
	s_cbranch_execz .LBB17_32
.LBB17_12:                              ; =>This Loop Header: Depth=1
                                        ;     Child Loop BB17_21 Depth 2
	v_ashrrev_i32_e32 v11, 31, v10
	s_mov_b32 s14, 0
                                        ; implicit-def: $sgpr15
                                        ; implicit-def: $sgpr22
                                        ; implicit-def: $sgpr23
	s_delay_alu instid0(VALU_DEP_1) | instskip(NEXT) | instid1(VALU_DEP_1)
	v_lshlrev_b64_e32 v[14:15], 2, v[10:11]
	v_add_co_u32 v14, vcc_lo, s6, v14
	s_wait_alu 0xfffd
	s_delay_alu instid0(VALU_DEP_2)
	v_add_co_ci_u32_e64 v15, null, s7, v15, vcc_lo
	global_load_b32 v11, v[14:15], off
	v_mov_b32_e32 v14, 0x100
	s_wait_loadcnt 0x0
	v_mul_lo_u32 v16, 0x67, v11
	s_branch .LBB17_21
.LBB17_13:                              ;   in Loop: Header=BB17_21 Depth=2
	s_or_b32 exec_lo, exec_lo, s37
	s_delay_alu instid0(SALU_CYCLE_1)
	s_or_not1_b32 s35, s35, exec_lo
	s_or_not1_b32 s36, s36, exec_lo
.LBB17_14:                              ;   in Loop: Header=BB17_21 Depth=2
	s_or_b32 exec_lo, exec_lo, s34
	s_delay_alu instid0(SALU_CYCLE_1)
	s_and_b32 s35, s35, exec_lo
	s_or_not1_b32 s34, s36, exec_lo
.LBB17_15:                              ;   in Loop: Header=BB17_21 Depth=2
	s_or_b32 exec_lo, exec_lo, s33
	s_delay_alu instid0(SALU_CYCLE_1)
	s_or_not1_b32 s33, s35, exec_lo
	s_or_not1_b32 s34, s34, exec_lo
.LBB17_16:                              ;   in Loop: Header=BB17_21 Depth=2
	s_or_b32 exec_lo, exec_lo, s31
	s_delay_alu instid0(SALU_CYCLE_1)
	s_and_b32 s33, s33, exec_lo
	s_or_not1_b32 s31, s34, exec_lo
.LBB17_17:                              ;   in Loop: Header=BB17_21 Depth=2
	s_wait_alu 0xfffe
	s_or_b32 exec_lo, exec_lo, s27
	s_delay_alu instid0(SALU_CYCLE_1)
	s_or_not1_b32 s27, s33, exec_lo
	s_or_not1_b32 s31, s31, exec_lo
.LBB17_18:                              ;   in Loop: Header=BB17_21 Depth=2
	s_wait_alu 0xfffe
	s_or_b32 exec_lo, exec_lo, s26
	s_delay_alu instid0(SALU_CYCLE_1)
	s_and_b32 s27, s27, exec_lo
	s_or_not1_b32 s26, s31, exec_lo
.LBB17_19:                              ;   in Loop: Header=BB17_21 Depth=2
	s_wait_alu 0xfffe
	s_or_b32 exec_lo, exec_lo, s25
	s_delay_alu instid0(SALU_CYCLE_1)
	s_and_not1_b32 s23, s23, exec_lo
	s_and_b32 s25, s27, exec_lo
	s_and_not1_b32 s22, s22, exec_lo
	s_and_b32 s26, s26, exec_lo
	s_wait_alu 0xfffe
	s_or_b32 s23, s23, s25
	s_or_b32 s22, s22, s26
.LBB17_20:                              ;   in Loop: Header=BB17_21 Depth=2
	s_wait_alu 0xfffe
	s_or_b32 exec_lo, exec_lo, s24
	s_delay_alu instid0(SALU_CYCLE_1)
	s_and_b32 s24, exec_lo, s22
	s_wait_alu 0xfffe
	s_or_b32 s14, s24, s14
	s_and_not1_b32 s15, s15, exec_lo
	s_and_b32 s24, s23, exec_lo
	s_wait_alu 0xfffe
	s_or_b32 s15, s15, s24
	s_and_not1_b32 exec_lo, exec_lo, s14
	s_cbranch_execz .LBB17_30
.LBB17_21:                              ;   Parent Loop BB17_12 Depth=1
                                        ; =>  This Inner Loop Header: Depth=2
	s_delay_alu instid0(VALU_DEP_1) | instskip(SKIP_3) | instid1(VALU_DEP_1)
	v_and_b32_e32 v15, 0xff, v16
	s_or_b32 s23, s23, exec_lo
	s_or_b32 s22, s22, exec_lo
	s_mov_b32 s24, exec_lo
	v_lshl_add_u32 v17, v15, 2, v19
	ds_load_b32 v20, v17
	s_wait_dscnt 0x0
	v_cmpx_ne_u32_e64 v20, v11
	s_cbranch_execz .LBB17_20
; %bb.22:                               ;   in Loop: Header=BB17_21 Depth=2
	ds_cmpstore_rtn_b32 v17, v17, v11, v13
	s_mov_b32 s26, -1
	s_mov_b32 s27, 0
	s_mov_b32 s25, exec_lo
	s_wait_dscnt 0x0
	v_cmpx_ne_u32_e32 -1, v17
	s_cbranch_execz .LBB17_19
; %bb.23:                               ;   in Loop: Header=BB17_21 Depth=2
	v_add_nc_u32_e32 v15, 1, v16
	s_mov_b32 s31, -1
	s_mov_b32 s27, -1
	s_mov_b32 s26, exec_lo
	s_delay_alu instid0(VALU_DEP_1) | instskip(NEXT) | instid1(VALU_DEP_1)
	v_and_b32_e32 v15, 0xff, v15
	v_lshl_add_u32 v17, v15, 2, v19
	ds_load_b32 v20, v17
	s_wait_dscnt 0x0
	v_cmpx_ne_u32_e64 v20, v11
	s_cbranch_execz .LBB17_18
; %bb.24:                               ;   in Loop: Header=BB17_21 Depth=2
	ds_cmpstore_rtn_b32 v17, v17, v11, v13
	s_mov_b32 s33, 0
	s_mov_b32 s27, exec_lo
	s_wait_dscnt 0x0
	v_cmpx_ne_u32_e32 -1, v17
	s_cbranch_execz .LBB17_17
; %bb.25:                               ;   in Loop: Header=BB17_21 Depth=2
	v_add_nc_u32_e32 v15, 2, v16
	s_mov_b32 s34, -1
	s_mov_b32 s33, -1
	s_mov_b32 s31, exec_lo
	s_delay_alu instid0(VALU_DEP_1) | instskip(NEXT) | instid1(VALU_DEP_1)
	v_and_b32_e32 v15, 0xff, v15
	v_lshl_add_u32 v17, v15, 2, v19
	ds_load_b32 v20, v17
	s_wait_dscnt 0x0
	v_cmpx_ne_u32_e64 v20, v11
	s_cbranch_execz .LBB17_16
; %bb.26:                               ;   in Loop: Header=BB17_21 Depth=2
	ds_cmpstore_rtn_b32 v17, v17, v11, v13
	s_mov_b32 s35, 0
	s_mov_b32 s33, exec_lo
	s_wait_dscnt 0x0
	v_cmpx_ne_u32_e32 -1, v17
	s_cbranch_execz .LBB17_15
; %bb.27:                               ;   in Loop: Header=BB17_21 Depth=2
	v_add_nc_u32_e32 v15, 3, v16
	s_mov_b32 s36, -1
	s_mov_b32 s35, -1
	s_delay_alu instid0(VALU_DEP_1) | instskip(NEXT) | instid1(VALU_DEP_1)
	v_and_b32_e32 v15, 0xff, v15
	v_lshl_add_u32 v17, v15, 2, v19
	ds_load_b32 v16, v17
	s_wait_dscnt 0x0
	v_cmp_ne_u32_e32 vcc_lo, v16, v11
                                        ; implicit-def: $vgpr16
	s_and_saveexec_b32 s34, vcc_lo
	s_cbranch_execz .LBB17_14
; %bb.28:                               ;   in Loop: Header=BB17_21 Depth=2
	ds_cmpstore_rtn_b32 v16, v17, v11, v13
	s_mov_b32 s35, 0
	s_wait_dscnt 0x0
	v_cmp_ne_u32_e32 vcc_lo, -1, v16
                                        ; implicit-def: $vgpr16
	s_and_saveexec_b32 s37, vcc_lo
	s_cbranch_execz .LBB17_13
; %bb.29:                               ;   in Loop: Header=BB17_21 Depth=2
	v_add_nc_u32_e32 v14, -4, v14
	v_add_nc_u32_e32 v16, 1, v15
	s_mov_b32 s35, exec_lo
	s_delay_alu instid0(VALU_DEP_2)
	v_cmp_eq_u32_e32 vcc_lo, 0, v14
	s_or_not1_b32 s36, vcc_lo, exec_lo
	s_branch .LBB17_13
.LBB17_30:                              ;   in Loop: Header=BB17_12 Depth=1
	s_or_b32 exec_lo, exec_lo, s14
	s_xor_b32 s14, s15, -1
	s_delay_alu instid0(SALU_CYCLE_1) | instskip(NEXT) | instid1(SALU_CYCLE_1)
	s_and_saveexec_b32 s15, s14
	s_xor_b32 s14, exec_lo, s15
	s_cbranch_execz .LBB17_11
; %bb.31:                               ;   in Loop: Header=BB17_12 Depth=1
	v_lshl_add_u32 v11, v15, 2, v0
	ds_store_b32 v11, v10
	s_branch .LBB17_11
.LBB17_32:
	s_wait_alu 0xfffe
	s_or_b32 exec_lo, exec_lo, s2
	s_delay_alu instid0(SALU_CYCLE_1)
	s_mov_b32 s2, exec_lo
	s_wait_loadcnt_dscnt 0x0
	global_inv scope:SCOPE_SE
	v_cmpx_lt_i32_e64 v9, v8
	s_cbranch_execz .LBB17_62
; %bb.33:
	v_add_nc_u32_e32 v20, 1, v18
	s_mov_b32 s3, 0
	s_branch .LBB17_36
.LBB17_34:                              ;   in Loop: Header=BB17_36 Depth=1
	s_or_b32 exec_lo, exec_lo, s15
	v_add_nc_u32_e32 v9, 1, v9
	s_delay_alu instid0(VALU_DEP_1)
	v_cmp_ge_i32_e32 vcc_lo, v9, v8
	s_or_not1_b32 s15, vcc_lo, exec_lo
.LBB17_35:                              ;   in Loop: Header=BB17_36 Depth=1
	s_or_b32 exec_lo, exec_lo, s14
	s_delay_alu instid0(SALU_CYCLE_1)
	s_and_b32 s14, exec_lo, s15
	s_wait_alu 0xfffe
	s_or_b32 s3, s14, s3
	s_wait_alu 0xfffe
	s_and_not1_b32 exec_lo, exec_lo, s3
	s_cbranch_execz .LBB17_62
.LBB17_36:                              ; =>This Loop Header: Depth=1
                                        ;     Child Loop BB17_37 Depth 2
                                        ;     Child Loop BB17_42 Depth 2
                                        ;       Child Loop BB17_51 Depth 3
	v_ashrrev_i32_e32 v10, 31, v9
	s_mov_b32 s14, 0
	s_delay_alu instid0(VALU_DEP_1) | instskip(SKIP_1) | instid1(VALU_DEP_2)
	v_lshlrev_b64_e32 v[11:12], 2, v[9:10]
	v_lshlrev_b64_e32 v[13:14], 3, v[9:10]
	v_add_co_u32 v11, vcc_lo, s6, v11
	s_wait_alu 0xfffd
	s_delay_alu instid0(VALU_DEP_3) | instskip(NEXT) | instid1(VALU_DEP_3)
	v_add_co_ci_u32_e64 v12, null, s7, v12, vcc_lo
	v_add_co_u32 v13, vcc_lo, s8, v13
	s_wait_alu 0xfffd
	v_add_co_ci_u32_e64 v14, null, s9, v14, vcc_lo
	global_load_b32 v11, v[11:12], off
	s_wait_loadcnt 0x0
	v_subrev_nc_u32_e32 v11, s28, v11
	s_delay_alu instid0(VALU_DEP_1) | instskip(NEXT) | instid1(VALU_DEP_1)
	v_ashrrev_i32_e32 v12, 31, v11
	v_lshlrev_b64_e32 v[15:16], 2, v[11:12]
	s_delay_alu instid0(VALU_DEP_1) | instskip(SKIP_1) | instid1(VALU_DEP_2)
	v_add_co_u32 v21, vcc_lo, s4, v15
	s_wait_alu 0xfffd
	v_add_co_ci_u32_e64 v22, null, s5, v16, vcc_lo
	v_add_co_u32 v23, vcc_lo, s10, v15
	s_wait_alu 0xfffd
	v_add_co_ci_u32_e64 v24, null, s11, v16, vcc_lo
	global_load_b64 v[10:11], v[13:14], off
	global_load_b32 v12, v[21:22], off offset:4
	global_load_b32 v17, v[23:24], off
	v_add_co_u32 v15, vcc_lo, s12, v15
	s_wait_alu 0xfffd
	v_add_co_ci_u32_e64 v16, null, s13, v16, vcc_lo
.LBB17_37:                              ;   Parent Loop BB17_36 Depth=1
                                        ; =>  This Inner Loop Header: Depth=2
	global_load_b32 v21, v[15:16], off scope:SCOPE_DEV
	s_wait_loadcnt 0x0
	v_cmp_ne_u32_e32 vcc_lo, 0, v21
	s_or_b32 s14, vcc_lo, s14
	s_delay_alu instid0(SALU_CYCLE_1)
	s_and_not1_b32 exec_lo, exec_lo, s14
	s_cbranch_execnz .LBB17_37
; %bb.38:                               ;   in Loop: Header=BB17_36 Depth=1
	s_or_b32 exec_lo, exec_lo, s14
	v_subrev_nc_u32_e32 v21, s28, v12
	v_cmp_eq_u32_e32 vcc_lo, -1, v17
	global_inv scope:SCOPE_DEV
	s_mov_b32 s15, -1
	s_mov_b32 s14, exec_lo
	v_add_nc_u32_e32 v12, -1, v21
	s_wait_alu 0xfffd
	s_delay_alu instid0(VALU_DEP_1) | instskip(NEXT) | instid1(VALU_DEP_1)
	v_cndmask_b32_e32 v15, v17, v12, vcc_lo
	v_ashrrev_i32_e32 v16, 31, v15
	s_delay_alu instid0(VALU_DEP_1) | instskip(NEXT) | instid1(VALU_DEP_1)
	v_lshlrev_b64_e32 v[16:17], 3, v[15:16]
	v_add_co_u32 v16, vcc_lo, s8, v16
	s_wait_alu 0xfffd
	s_delay_alu instid0(VALU_DEP_2)
	v_add_co_ci_u32_e64 v17, null, s9, v17, vcc_lo
	global_load_b64 v[16:17], v[16:17], off
	s_wait_loadcnt 0x0
	v_cmpx_neq_f64_e32 0, v[16:17]
	s_cbranch_execz .LBB17_35
; %bb.39:                               ;   in Loop: Header=BB17_36 Depth=1
	v_div_scale_f64 v[22:23], null, v[16:17], v[16:17], v[10:11]
	v_add_nc_u32_e32 v12, v20, v15
	s_mov_b32 s15, exec_lo
	s_delay_alu instid0(VALU_DEP_2) | instskip(NEXT) | instid1(TRANS32_DEP_1)
	v_rcp_f64_e32 v[24:25], v[22:23]
	v_fma_f64 v[26:27], -v[22:23], v[24:25], 1.0
	s_delay_alu instid0(VALU_DEP_1) | instskip(NEXT) | instid1(VALU_DEP_1)
	v_fma_f64 v[24:25], v[24:25], v[26:27], v[24:25]
	v_fma_f64 v[26:27], -v[22:23], v[24:25], 1.0
	s_delay_alu instid0(VALU_DEP_1) | instskip(SKIP_1) | instid1(VALU_DEP_1)
	v_fma_f64 v[24:25], v[24:25], v[26:27], v[24:25]
	v_div_scale_f64 v[26:27], vcc_lo, v[10:11], v[16:17], v[10:11]
	v_mul_f64_e32 v[28:29], v[26:27], v[24:25]
	s_delay_alu instid0(VALU_DEP_1) | instskip(SKIP_1) | instid1(VALU_DEP_1)
	v_fma_f64 v[22:23], -v[22:23], v[28:29], v[26:27]
	s_wait_alu 0xfffd
	v_div_fmas_f64 v[22:23], v[22:23], v[24:25], v[28:29]
	s_delay_alu instid0(VALU_DEP_1)
	v_div_fixup_f64 v[10:11], v[22:23], v[16:17], v[10:11]
	global_store_b64 v[13:14], v[10:11], off
	v_cmpx_lt_i32_e64 v12, v21
	s_cbranch_execz .LBB17_34
; %bb.40:                               ;   in Loop: Header=BB17_36 Depth=1
	s_mov_b32 s22, 0
	s_branch .LBB17_42
.LBB17_41:                              ;   in Loop: Header=BB17_42 Depth=2
	s_or_b32 exec_lo, exec_lo, s23
	v_add_nc_u32_e32 v12, 32, v12
	s_delay_alu instid0(VALU_DEP_1) | instskip(SKIP_1) | instid1(SALU_CYCLE_1)
	v_cmp_ge_i32_e32 vcc_lo, v12, v21
	s_or_b32 s22, vcc_lo, s22
	s_and_not1_b32 exec_lo, exec_lo, s22
	s_cbranch_execz .LBB17_34
.LBB17_42:                              ;   Parent Loop BB17_36 Depth=1
                                        ; =>  This Loop Header: Depth=2
                                        ;       Child Loop BB17_51 Depth 3
	v_ashrrev_i32_e32 v13, 31, v12
	s_mov_b32 s23, 0
                                        ; implicit-def: $sgpr24
                                        ; implicit-def: $sgpr25
                                        ; implicit-def: $sgpr26
	s_delay_alu instid0(VALU_DEP_1) | instskip(NEXT) | instid1(VALU_DEP_1)
	v_lshlrev_b64_e32 v[14:15], 2, v[12:13]
	v_add_co_u32 v14, vcc_lo, s6, v14
	s_wait_alu 0xfffd
	s_delay_alu instid0(VALU_DEP_2)
	v_add_co_ci_u32_e64 v15, null, s7, v15, vcc_lo
	global_load_b32 v14, v[14:15], off
	v_mov_b32_e32 v15, 0x100
	s_wait_loadcnt 0x0
	v_mul_lo_u32 v17, 0x67, v14
	s_branch .LBB17_51
.LBB17_43:                              ;   in Loop: Header=BB17_51 Depth=3
	s_or_b32 exec_lo, exec_lo, s40
	s_delay_alu instid0(SALU_CYCLE_1)
	s_or_not1_b32 s38, s38, exec_lo
	s_or_not1_b32 s39, s39, exec_lo
.LBB17_44:                              ;   in Loop: Header=BB17_51 Depth=3
	s_or_b32 exec_lo, exec_lo, s37
	s_delay_alu instid0(SALU_CYCLE_1)
	s_and_b32 s38, s38, exec_lo
	s_or_not1_b32 s37, s39, exec_lo
.LBB17_45:                              ;   in Loop: Header=BB17_51 Depth=3
	s_or_b32 exec_lo, exec_lo, s36
	s_delay_alu instid0(SALU_CYCLE_1)
	s_or_not1_b32 s36, s38, exec_lo
	s_or_not1_b32 s37, s37, exec_lo
.LBB17_46:                              ;   in Loop: Header=BB17_51 Depth=3
	s_or_b32 exec_lo, exec_lo, s35
	s_delay_alu instid0(SALU_CYCLE_1)
	s_and_b32 s36, s36, exec_lo
	s_or_not1_b32 s35, s37, exec_lo
.LBB17_47:                              ;   in Loop: Header=BB17_51 Depth=3
	s_or_b32 exec_lo, exec_lo, s34
	s_delay_alu instid0(SALU_CYCLE_1)
	s_or_not1_b32 s34, s36, exec_lo
	s_or_not1_b32 s35, s35, exec_lo
.LBB17_48:                              ;   in Loop: Header=BB17_51 Depth=3
	s_or_b32 exec_lo, exec_lo, s33
	s_delay_alu instid0(SALU_CYCLE_1)
	s_and_b32 s34, s34, exec_lo
	s_or_not1_b32 s33, s35, exec_lo
.LBB17_49:                              ;   in Loop: Header=BB17_51 Depth=3
	s_or_b32 exec_lo, exec_lo, s31
	s_wait_alu 0xfffe
	s_and_not1_b32 s26, s26, exec_lo
	s_and_b32 s31, s34, exec_lo
	s_and_not1_b32 s25, s25, exec_lo
	s_and_b32 s33, s33, exec_lo
	s_wait_alu 0xfffe
	s_or_b32 s26, s26, s31
	s_or_b32 s25, s25, s33
.LBB17_50:                              ;   in Loop: Header=BB17_51 Depth=3
	s_wait_alu 0xfffe
	s_or_b32 exec_lo, exec_lo, s27
	s_delay_alu instid0(SALU_CYCLE_1)
	s_and_b32 s27, exec_lo, s25
	s_wait_alu 0xfffe
	s_or_b32 s23, s27, s23
	s_and_not1_b32 s24, s24, exec_lo
	s_and_b32 s27, s26, exec_lo
	s_wait_alu 0xfffe
	s_or_b32 s24, s24, s27
	s_and_not1_b32 exec_lo, exec_lo, s23
	s_cbranch_execz .LBB17_60
.LBB17_51:                              ;   Parent Loop BB17_36 Depth=1
                                        ;     Parent Loop BB17_42 Depth=2
                                        ; =>    This Inner Loop Header: Depth=3
	s_delay_alu instid0(VALU_DEP_1) | instskip(SKIP_3) | instid1(VALU_DEP_1)
	v_and_b32_e32 v16, 0xff, v17
	s_or_b32 s26, s26, exec_lo
	s_or_b32 s25, s25, exec_lo
	s_mov_b32 s27, exec_lo
	v_lshl_add_u32 v22, v16, 2, v19
	ds_load_b32 v22, v22
	s_wait_dscnt 0x0
	v_cmpx_ne_u32_e32 -1, v22
	s_cbranch_execz .LBB17_50
; %bb.52:                               ;   in Loop: Header=BB17_51 Depth=3
	s_mov_b32 s33, -1
	s_mov_b32 s34, 0
	s_mov_b32 s31, exec_lo
	v_cmpx_ne_u32_e64 v22, v14
	s_cbranch_execz .LBB17_49
; %bb.53:                               ;   in Loop: Header=BB17_51 Depth=3
	v_add_nc_u32_e32 v16, 1, v17
	s_mov_b32 s35, -1
	s_mov_b32 s34, -1
	s_mov_b32 s33, exec_lo
	s_delay_alu instid0(VALU_DEP_1) | instskip(NEXT) | instid1(VALU_DEP_1)
	v_and_b32_e32 v16, 0xff, v16
	v_lshl_add_u32 v22, v16, 2, v19
	ds_load_b32 v22, v22
	s_wait_dscnt 0x0
	v_cmpx_ne_u32_e32 -1, v22
	s_cbranch_execz .LBB17_48
; %bb.54:                               ;   in Loop: Header=BB17_51 Depth=3
	s_mov_b32 s36, 0
	s_mov_b32 s34, exec_lo
	v_cmpx_ne_u32_e64 v22, v14
	s_cbranch_execz .LBB17_47
; %bb.55:                               ;   in Loop: Header=BB17_51 Depth=3
	v_add_nc_u32_e32 v16, 2, v17
	s_mov_b32 s37, -1
	s_mov_b32 s36, -1
	s_mov_b32 s35, exec_lo
	s_delay_alu instid0(VALU_DEP_1) | instskip(NEXT) | instid1(VALU_DEP_1)
	v_and_b32_e32 v16, 0xff, v16
	v_lshl_add_u32 v22, v16, 2, v19
	ds_load_b32 v22, v22
	s_wait_dscnt 0x0
	v_cmpx_ne_u32_e32 -1, v22
	s_cbranch_execz .LBB17_46
; %bb.56:                               ;   in Loop: Header=BB17_51 Depth=3
	s_mov_b32 s38, 0
	s_mov_b32 s36, exec_lo
	v_cmpx_ne_u32_e64 v22, v14
	s_cbranch_execz .LBB17_45
; %bb.57:                               ;   in Loop: Header=BB17_51 Depth=3
	v_add_nc_u32_e32 v16, 3, v17
	s_mov_b32 s39, -1
	s_mov_b32 s38, -1
	s_mov_b32 s37, exec_lo
	s_delay_alu instid0(VALU_DEP_1) | instskip(NEXT) | instid1(VALU_DEP_1)
	v_and_b32_e32 v16, 0xff, v16
	v_lshl_add_u32 v17, v16, 2, v19
	ds_load_b32 v22, v17
                                        ; implicit-def: $vgpr17
	s_wait_dscnt 0x0
	v_cmpx_ne_u32_e32 -1, v22
	s_cbranch_execz .LBB17_44
; %bb.58:                               ;   in Loop: Header=BB17_51 Depth=3
	s_mov_b32 s38, 0
	s_mov_b32 s40, exec_lo
                                        ; implicit-def: $vgpr17
	v_cmpx_ne_u32_e64 v22, v14
	s_cbranch_execz .LBB17_43
; %bb.59:                               ;   in Loop: Header=BB17_51 Depth=3
	v_add_nc_u32_e32 v15, -4, v15
	v_add_nc_u32_e32 v17, 1, v16
	s_mov_b32 s38, exec_lo
	s_delay_alu instid0(VALU_DEP_2)
	v_cmp_eq_u32_e32 vcc_lo, 0, v15
	s_or_not1_b32 s39, vcc_lo, exec_lo
	s_branch .LBB17_43
.LBB17_60:                              ;   in Loop: Header=BB17_42 Depth=2
	s_or_b32 exec_lo, exec_lo, s23
	s_wait_alu 0xfffe
	s_xor_b32 s23, s24, -1
	s_delay_alu instid0(SALU_CYCLE_1)
	s_and_saveexec_b32 s24, s23
	s_wait_alu 0xfffe
	s_xor_b32 s23, exec_lo, s24
	s_cbranch_execz .LBB17_41
; %bb.61:                               ;   in Loop: Header=BB17_42 Depth=2
	v_lshl_add_u32 v14, v16, 2, v0
	v_lshlrev_b64_e32 v[16:17], 3, v[12:13]
	ds_load_b32 v14, v14
	s_wait_dscnt 0x0
	v_ashrrev_i32_e32 v15, 31, v14
	s_delay_alu instid0(VALU_DEP_1) | instskip(SKIP_3) | instid1(VALU_DEP_3)
	v_lshlrev_b64_e32 v[13:14], 3, v[14:15]
	v_add_co_u32 v15, vcc_lo, s8, v16
	s_wait_alu 0xfffd
	v_add_co_ci_u32_e64 v16, null, s9, v17, vcc_lo
	v_add_co_u32 v13, vcc_lo, s8, v13
	s_wait_alu 0xfffd
	v_add_co_ci_u32_e64 v14, null, s9, v14, vcc_lo
	s_clause 0x1
	global_load_b64 v[15:16], v[15:16], off
	global_load_b64 v[22:23], v[13:14], off
	s_wait_loadcnt 0x0
	v_fma_f64 v[15:16], -v[10:11], v[15:16], v[22:23]
	global_store_b64 v[13:14], v[15:16], off
	s_branch .LBB17_41
.LBB17_62:
	s_wait_alu 0xfffe
	s_or_b32 exec_lo, exec_lo, s2
	s_mov_b32 s4, -1
	s_mov_b32 s3, exec_lo
	s_wait_loadcnt 0x0
	s_wait_storecnt 0x0
	global_inv scope:SCOPE_SE
	v_cmpx_lt_i32_e32 -1, v8
	s_cbranch_execz .LBB17_78
; %bb.63:
	v_mov_b32_e32 v9, 0
	v_cmp_eq_u32_e64 s2, 0, v18
	s_delay_alu instid0(VALU_DEP_2) | instskip(NEXT) | instid1(VALU_DEP_1)
	v_lshlrev_b64_e32 v[8:9], 3, v[8:9]
	v_add_co_u32 v12, vcc_lo, s8, v8
	s_wait_alu 0xfffd
	s_delay_alu instid0(VALU_DEP_2)
	v_add_co_ci_u32_e64 v13, null, s9, v9, vcc_lo
	global_load_b64 v[8:9], v[12:13], off
	s_wait_loadcnt 0x0
	v_cmp_gt_f64_e32 vcc_lo, 0, v[8:9]
	v_xor_b32_e32 v0, 0x80000000, v9
	s_wait_alu 0xfffd
	s_delay_alu instid0(VALU_DEP_1)
	v_dual_mov_b32 v10, v8 :: v_dual_cndmask_b32 v11, v9, v0
	s_and_not1_b32 vcc_lo, exec_lo, s29
	s_wait_alu 0xfffe
	s_cbranch_vccnz .LBB17_67
; %bb.64:
	v_cvt_f64_f32_e32 v[14:15], s30
	s_cmp_eq_u64 s[20:21], 8
	s_cselect_b32 vcc_lo, -1, 0
	s_wait_alu 0xfffe
	s_delay_alu instid0(VALU_DEP_1) | instskip(NEXT) | instid1(VALU_DEP_1)
	v_dual_cndmask_b32 v4, v15, v4 :: v_dual_cndmask_b32 v3, v14, v3
	v_cmp_le_f64_e32 vcc_lo, v[10:11], v[3:4]
	s_and_b32 s5, s2, vcc_lo
	s_wait_alu 0xfffe
	s_and_saveexec_b32 s4, s5
	s_cbranch_execz .LBB17_66
; %bb.65:
	global_store_b64 v[12:13], v[5:6], off
	s_wait_storecnt 0x0
	global_inv scope:SCOPE_DEV
.LBB17_66:
	s_wait_alu 0xfffe
	s_or_b32 exec_lo, exec_lo, s4
	s_mov_b32 s4, 0
.LBB17_67:
	s_wait_alu 0xfffe
	s_and_not1_b32 vcc_lo, exec_lo, s4
	s_wait_alu 0xfffe
	s_cbranch_vccnz .LBB17_78
; %bb.68:
	s_load_b64 s[0:1], s[0:1], 0x48
	v_add_nc_u32_e32 v0, s28, v7
	s_wait_kmcnt 0x0
	v_cmp_ge_f64_e32 vcc_lo, s[0:1], v[10:11]
	s_and_b32 s1, s2, vcc_lo
	s_wait_alu 0xfffe
	s_and_saveexec_b32 s0, s1
	s_cbranch_execz .LBB17_73
; %bb.69:
	s_mov_b32 s4, exec_lo
	s_brev_b32 s1, -2
.LBB17_70:                              ; =>This Inner Loop Header: Depth=1
	s_wait_alu 0xfffe
	s_ctz_i32_b32 s5, s4
	s_wait_alu 0xfffe
	v_readlane_b32 s6, v0, s5
	s_lshl_b32 s5, 1, s5
	s_wait_alu 0xfffe
	s_and_not1_b32 s4, s4, s5
	s_min_i32 s1, s1, s6
	s_wait_alu 0xfffe
	s_cmp_lg_u32 s4, 0
	s_cbranch_scc1 .LBB17_70
; %bb.71:
	v_mbcnt_lo_u32_b32 v3, exec_lo, 0
	s_mov_b32 s4, exec_lo
	s_delay_alu instid0(VALU_DEP_1)
	v_cmpx_eq_u32_e32 0, v3
	s_wait_alu 0xfffe
	s_xor_b32 s4, exec_lo, s4
	s_cbranch_execz .LBB17_73
; %bb.72:
	v_dual_mov_b32 v3, 0 :: v_dual_mov_b32 v4, s1
	global_atomic_min_i32 v3, v4, s[18:19] scope:SCOPE_DEV
.LBB17_73:
	s_wait_alu 0xfffe
	s_or_b32 exec_lo, exec_lo, s0
	v_cmp_eq_f64_e32 vcc_lo, 0, v[8:9]
	s_and_b32 s0, s2, vcc_lo
	s_wait_alu 0xfffe
	s_and_b32 exec_lo, exec_lo, s0
	s_cbranch_execz .LBB17_78
; %bb.74:
	s_mov_b32 s1, exec_lo
	s_brev_b32 s0, -2
.LBB17_75:                              ; =>This Inner Loop Header: Depth=1
	s_wait_alu 0xfffe
	s_ctz_i32_b32 s2, s1
	s_wait_alu 0xfffe
	v_readlane_b32 s4, v0, s2
	s_lshl_b32 s2, 1, s2
	s_wait_alu 0xfffe
	s_and_not1_b32 s1, s1, s2
	s_min_i32 s0, s0, s4
	s_wait_alu 0xfffe
	s_cmp_lg_u32 s1, 0
	s_cbranch_scc1 .LBB17_75
; %bb.76:
	v_mbcnt_lo_u32_b32 v0, exec_lo, 0
	s_mov_b32 s1, exec_lo
	s_delay_alu instid0(VALU_DEP_1)
	v_cmpx_eq_u32_e32 0, v0
	s_wait_alu 0xfffe
	s_xor_b32 s1, exec_lo, s1
	s_cbranch_execz .LBB17_78
; %bb.77:
	v_dual_mov_b32 v0, 0 :: v_dual_mov_b32 v3, s0
	global_atomic_min_i32 v0, v3, s[16:17] scope:SCOPE_DEV
.LBB17_78:
	s_wait_alu 0xfffe
	s_or_b32 exec_lo, exec_lo, s3
	v_cmp_eq_u32_e32 vcc_lo, 0, v18
	s_wait_loadcnt 0x0
	s_wait_storecnt 0x0
	global_inv scope:SCOPE_DEV
	s_and_b32 exec_lo, exec_lo, vcc_lo
	s_cbranch_execz .LBB17_80
; %bb.79:
	v_add_co_u32 v0, vcc_lo, s12, v1
	s_wait_alu 0xfffd
	v_add_co_ci_u32_e64 v1, null, s13, v2, vcc_lo
	v_mov_b32_e32 v2, 1
	s_wait_loadcnt 0x0
	global_store_b32 v[0:1], v2, off scope:SCOPE_DEV
.LBB17_80:
	s_endpgm
	.section	.rodata,"a",@progbits
	.p2align	6, 0x0
	.amdhsa_kernel _ZN9rocsparseL12csrilu0_hashILj256ELj32ELj8EdEEviPKiS2_PT2_S2_PiS2_S5_S5_d21rocsparse_index_base_imNS_24const_host_device_scalarIfEENS7_IdEENS7_IS3_EEb
		.amdhsa_group_segment_fixed_size 16384
		.amdhsa_private_segment_fixed_size 0
		.amdhsa_kernarg_size 124
		.amdhsa_user_sgpr_count 2
		.amdhsa_user_sgpr_dispatch_ptr 0
		.amdhsa_user_sgpr_queue_ptr 0
		.amdhsa_user_sgpr_kernarg_segment_ptr 1
		.amdhsa_user_sgpr_dispatch_id 0
		.amdhsa_user_sgpr_private_segment_size 0
		.amdhsa_wavefront_size32 1
		.amdhsa_uses_dynamic_stack 0
		.amdhsa_enable_private_segment 0
		.amdhsa_system_sgpr_workgroup_id_x 1
		.amdhsa_system_sgpr_workgroup_id_y 0
		.amdhsa_system_sgpr_workgroup_id_z 0
		.amdhsa_system_sgpr_workgroup_info 0
		.amdhsa_system_vgpr_workitem_id 0
		.amdhsa_next_free_vgpr 30
		.amdhsa_next_free_sgpr 41
		.amdhsa_reserve_vcc 1
		.amdhsa_float_round_mode_32 0
		.amdhsa_float_round_mode_16_64 0
		.amdhsa_float_denorm_mode_32 3
		.amdhsa_float_denorm_mode_16_64 3
		.amdhsa_fp16_overflow 0
		.amdhsa_workgroup_processor_mode 1
		.amdhsa_memory_ordered 1
		.amdhsa_forward_progress 1
		.amdhsa_inst_pref_size 26
		.amdhsa_round_robin_scheduling 0
		.amdhsa_exception_fp_ieee_invalid_op 0
		.amdhsa_exception_fp_denorm_src 0
		.amdhsa_exception_fp_ieee_div_zero 0
		.amdhsa_exception_fp_ieee_overflow 0
		.amdhsa_exception_fp_ieee_underflow 0
		.amdhsa_exception_fp_ieee_inexact 0
		.amdhsa_exception_int_div_zero 0
	.end_amdhsa_kernel
	.section	.text._ZN9rocsparseL12csrilu0_hashILj256ELj32ELj8EdEEviPKiS2_PT2_S2_PiS2_S5_S5_d21rocsparse_index_base_imNS_24const_host_device_scalarIfEENS7_IdEENS7_IS3_EEb,"axG",@progbits,_ZN9rocsparseL12csrilu0_hashILj256ELj32ELj8EdEEviPKiS2_PT2_S2_PiS2_S5_S5_d21rocsparse_index_base_imNS_24const_host_device_scalarIfEENS7_IdEENS7_IS3_EEb,comdat
.Lfunc_end17:
	.size	_ZN9rocsparseL12csrilu0_hashILj256ELj32ELj8EdEEviPKiS2_PT2_S2_PiS2_S5_S5_d21rocsparse_index_base_imNS_24const_host_device_scalarIfEENS7_IdEENS7_IS3_EEb, .Lfunc_end17-_ZN9rocsparseL12csrilu0_hashILj256ELj32ELj8EdEEviPKiS2_PT2_S2_PiS2_S5_S5_d21rocsparse_index_base_imNS_24const_host_device_scalarIfEENS7_IdEENS7_IS3_EEb
                                        ; -- End function
	.set _ZN9rocsparseL12csrilu0_hashILj256ELj32ELj8EdEEviPKiS2_PT2_S2_PiS2_S5_S5_d21rocsparse_index_base_imNS_24const_host_device_scalarIfEENS7_IdEENS7_IS3_EEb.num_vgpr, 30
	.set _ZN9rocsparseL12csrilu0_hashILj256ELj32ELj8EdEEviPKiS2_PT2_S2_PiS2_S5_S5_d21rocsparse_index_base_imNS_24const_host_device_scalarIfEENS7_IdEENS7_IS3_EEb.num_agpr, 0
	.set _ZN9rocsparseL12csrilu0_hashILj256ELj32ELj8EdEEviPKiS2_PT2_S2_PiS2_S5_S5_d21rocsparse_index_base_imNS_24const_host_device_scalarIfEENS7_IdEENS7_IS3_EEb.numbered_sgpr, 41
	.set _ZN9rocsparseL12csrilu0_hashILj256ELj32ELj8EdEEviPKiS2_PT2_S2_PiS2_S5_S5_d21rocsparse_index_base_imNS_24const_host_device_scalarIfEENS7_IdEENS7_IS3_EEb.num_named_barrier, 0
	.set _ZN9rocsparseL12csrilu0_hashILj256ELj32ELj8EdEEviPKiS2_PT2_S2_PiS2_S5_S5_d21rocsparse_index_base_imNS_24const_host_device_scalarIfEENS7_IdEENS7_IS3_EEb.private_seg_size, 0
	.set _ZN9rocsparseL12csrilu0_hashILj256ELj32ELj8EdEEviPKiS2_PT2_S2_PiS2_S5_S5_d21rocsparse_index_base_imNS_24const_host_device_scalarIfEENS7_IdEENS7_IS3_EEb.uses_vcc, 1
	.set _ZN9rocsparseL12csrilu0_hashILj256ELj32ELj8EdEEviPKiS2_PT2_S2_PiS2_S5_S5_d21rocsparse_index_base_imNS_24const_host_device_scalarIfEENS7_IdEENS7_IS3_EEb.uses_flat_scratch, 0
	.set _ZN9rocsparseL12csrilu0_hashILj256ELj32ELj8EdEEviPKiS2_PT2_S2_PiS2_S5_S5_d21rocsparse_index_base_imNS_24const_host_device_scalarIfEENS7_IdEENS7_IS3_EEb.has_dyn_sized_stack, 0
	.set _ZN9rocsparseL12csrilu0_hashILj256ELj32ELj8EdEEviPKiS2_PT2_S2_PiS2_S5_S5_d21rocsparse_index_base_imNS_24const_host_device_scalarIfEENS7_IdEENS7_IS3_EEb.has_recursion, 0
	.set _ZN9rocsparseL12csrilu0_hashILj256ELj32ELj8EdEEviPKiS2_PT2_S2_PiS2_S5_S5_d21rocsparse_index_base_imNS_24const_host_device_scalarIfEENS7_IdEENS7_IS3_EEb.has_indirect_call, 0
	.section	.AMDGPU.csdata,"",@progbits
; Kernel info:
; codeLenInByte = 3264
; TotalNumSgprs: 43
; NumVgprs: 30
; ScratchSize: 0
; MemoryBound: 0
; FloatMode: 240
; IeeeMode: 1
; LDSByteSize: 16384 bytes/workgroup (compile time only)
; SGPRBlocks: 0
; VGPRBlocks: 3
; NumSGPRsForWavesPerEU: 43
; NumVGPRsForWavesPerEU: 30
; Occupancy: 16
; WaveLimiterHint : 1
; COMPUTE_PGM_RSRC2:SCRATCH_EN: 0
; COMPUTE_PGM_RSRC2:USER_SGPR: 2
; COMPUTE_PGM_RSRC2:TRAP_HANDLER: 0
; COMPUTE_PGM_RSRC2:TGID_X_EN: 1
; COMPUTE_PGM_RSRC2:TGID_Y_EN: 0
; COMPUTE_PGM_RSRC2:TGID_Z_EN: 0
; COMPUTE_PGM_RSRC2:TIDIG_COMP_CNT: 0
	.section	.text._ZN9rocsparseL12csrilu0_hashILj256ELj32ELj16EdEEviPKiS2_PT2_S2_PiS2_S5_S5_d21rocsparse_index_base_imNS_24const_host_device_scalarIfEENS7_IdEENS7_IS3_EEb,"axG",@progbits,_ZN9rocsparseL12csrilu0_hashILj256ELj32ELj16EdEEviPKiS2_PT2_S2_PiS2_S5_S5_d21rocsparse_index_base_imNS_24const_host_device_scalarIfEENS7_IdEENS7_IS3_EEb,comdat
	.globl	_ZN9rocsparseL12csrilu0_hashILj256ELj32ELj16EdEEviPKiS2_PT2_S2_PiS2_S5_S5_d21rocsparse_index_base_imNS_24const_host_device_scalarIfEENS7_IdEENS7_IS3_EEb ; -- Begin function _ZN9rocsparseL12csrilu0_hashILj256ELj32ELj16EdEEviPKiS2_PT2_S2_PiS2_S5_S5_d21rocsparse_index_base_imNS_24const_host_device_scalarIfEENS7_IdEENS7_IS3_EEb
	.p2align	8
	.type	_ZN9rocsparseL12csrilu0_hashILj256ELj32ELj16EdEEviPKiS2_PT2_S2_PiS2_S5_S5_d21rocsparse_index_base_imNS_24const_host_device_scalarIfEENS7_IdEENS7_IS3_EEb,@function
_ZN9rocsparseL12csrilu0_hashILj256ELj32ELj16EdEEviPKiS2_PT2_S2_PiS2_S5_S5_d21rocsparse_index_base_imNS_24const_host_device_scalarIfEENS7_IdEENS7_IS3_EEb: ; @_ZN9rocsparseL12csrilu0_hashILj256ELj32ELj16EdEEviPKiS2_PT2_S2_PiS2_S5_S5_d21rocsparse_index_base_imNS_24const_host_device_scalarIfEENS7_IdEENS7_IS3_EEb
; %bb.0:
	s_clause 0x2
	s_load_b32 s2, s[0:1], 0x78
	s_load_b64 s[28:29], s[0:1], 0x50
	s_load_b256 s[20:27], s[0:1], 0x58
	s_wait_kmcnt 0x0
	s_bitcmp1_b32 s2, 0
	s_cselect_b32 s2, -1, 0
	s_cmp_eq_u32 s29, 0
	s_cselect_b32 s4, -1, 0
	s_cmp_lg_u32 s29, 0
	s_cselect_b32 s29, -1, 0
	s_or_b32 s6, s4, s2
	s_delay_alu instid0(SALU_CYCLE_1)
	s_xor_b32 s5, s6, -1
	s_and_b32 s2, s4, exec_lo
	s_cselect_b32 s3, 0, s25
	s_cselect_b32 s2, 0, s24
	;; [unrolled: 1-line block ×3, first 2 shown]
	s_and_b32 vcc_lo, exec_lo, s6
	s_cbranch_vccnz .LBB18_2
; %bb.1:
	s_load_b32 s30, s[22:23], 0x0
	s_mov_b64 s[2:3], s[24:25]
.LBB18_2:
	v_cndmask_b32_e64 v1, 0, 1, s5
	v_dual_mov_b32 v4, s3 :: v_dual_mov_b32 v3, s2
	s_and_not1_b32 vcc_lo, exec_lo, s5
	s_cbranch_vccnz .LBB18_4
; %bb.3:
	v_dual_mov_b32 v2, s24 :: v_dual_mov_b32 v3, s25
	flat_load_b64 v[3:4], v[2:3]
.LBB18_4:
	s_and_b32 s2, s4, exec_lo
	s_cselect_b32 s3, 0, s27
	v_cmp_ne_u32_e32 vcc_lo, 1, v1
	s_cselect_b32 s2, 0, s26
	s_wait_alu 0xfffe
	v_dual_mov_b32 v6, s3 :: v_dual_mov_b32 v5, s2
	s_mov_b32 s2, 0
	s_cbranch_vccnz .LBB18_6
; %bb.5:
	v_dual_mov_b32 v1, s26 :: v_dual_mov_b32 v2, s27
	flat_load_b64 v[5:6], v[1:2]
.LBB18_6:
	v_lshrrev_b32_e32 v1, 5, v0
	v_and_b32_e32 v18, 31, v0
	s_delay_alu instid0(VALU_DEP_2) | instskip(NEXT) | instid1(VALU_DEP_2)
	v_lshlrev_b32_e32 v7, 11, v1
	v_lshlrev_b32_e32 v8, 2, v18
	v_or_b32_e32 v2, 0xffffffe0, v18
	s_delay_alu instid0(VALU_DEP_2)
	v_or3_b32 v7, v7, v8, 0x4000
	v_mov_b32_e32 v8, -1
.LBB18_7:                               ; =>This Inner Loop Header: Depth=1
	s_delay_alu instid0(VALU_DEP_3)
	v_add_nc_u32_e32 v2, 32, v2
	ds_store_b32 v7, v8
	v_add_nc_u32_e32 v7, 0x80, v7
	v_cmp_lt_u32_e32 vcc_lo, 0x1df, v2
	s_wait_alu 0xfffe
	s_or_b32 s2, vcc_lo, s2
	s_wait_alu 0xfffe
	s_and_not1_b32 exec_lo, exec_lo, s2
	s_cbranch_execnz .LBB18_7
; %bb.8:
	s_or_b32 exec_lo, exec_lo, s2
	s_load_b32 s2, s[0:1], 0x0
	s_lshl_b32 s3, ttmp9, 3
	s_wait_loadcnt_dscnt 0x0
	global_inv scope:SCOPE_SE
	s_wait_alu 0xfffe
	v_and_or_b32 v1, 0x7fffff8, s3, v1
	s_wait_kmcnt 0x0
	s_delay_alu instid0(VALU_DEP_1)
	v_cmp_gt_i32_e32 vcc_lo, s2, v1
	s_and_saveexec_b32 s2, vcc_lo
	s_cbranch_execz .LBB18_80
; %bb.9:
	s_load_b512 s[4:19], s[0:1], 0x8
	v_lshlrev_b32_e32 v1, 2, v1
	v_lshlrev_b32_e32 v0, 6, v0
	s_mov_b32 s2, exec_lo
	s_delay_alu instid0(VALU_DEP_1) | instskip(NEXT) | instid1(VALU_DEP_1)
	v_and_b32_e32 v0, 0x3800, v0
	v_or_b32_e32 v19, 0x4000, v0
	s_wait_kmcnt 0x0
	global_load_b32 v7, v1, s[14:15]
	s_wait_loadcnt 0x0
	v_ashrrev_i32_e32 v8, 31, v7
	s_delay_alu instid0(VALU_DEP_1) | instskip(NEXT) | instid1(VALU_DEP_1)
	v_lshlrev_b64_e32 v[1:2], 2, v[7:8]
	v_add_co_u32 v8, vcc_lo, s4, v1
	s_delay_alu instid0(VALU_DEP_1)
	v_add_co_ci_u32_e64 v9, null, s5, v2, vcc_lo
	v_add_co_u32 v11, vcc_lo, s10, v1
	s_wait_alu 0xfffd
	v_add_co_ci_u32_e64 v12, null, s11, v2, vcc_lo
	global_load_b64 v[9:10], v[8:9], off
	global_load_b32 v8, v[11:12], off
	s_wait_loadcnt 0x1
	v_subrev_nc_u32_e32 v9, s28, v9
	v_subrev_nc_u32_e32 v12, s28, v10
	s_delay_alu instid0(VALU_DEP_2) | instskip(NEXT) | instid1(VALU_DEP_1)
	v_add_nc_u32_e32 v10, v9, v18
	v_cmpx_lt_i32_e64 v10, v12
	s_cbranch_execz .LBB18_32
; %bb.10:
	v_mov_b32_e32 v13, -1
	s_mov_b32 s3, 0
	s_branch .LBB18_12
.LBB18_11:                              ;   in Loop: Header=BB18_12 Depth=1
	s_or_b32 exec_lo, exec_lo, s14
	v_add_nc_u32_e32 v10, 32, v10
	s_delay_alu instid0(VALU_DEP_1)
	v_cmp_ge_i32_e32 vcc_lo, v10, v12
	s_or_b32 s3, vcc_lo, s3
	s_wait_alu 0xfffe
	s_and_not1_b32 exec_lo, exec_lo, s3
	s_cbranch_execz .LBB18_32
.LBB18_12:                              ; =>This Loop Header: Depth=1
                                        ;     Child Loop BB18_21 Depth 2
	v_ashrrev_i32_e32 v11, 31, v10
	s_mov_b32 s14, 0
                                        ; implicit-def: $sgpr15
                                        ; implicit-def: $sgpr22
                                        ; implicit-def: $sgpr23
	s_delay_alu instid0(VALU_DEP_1) | instskip(NEXT) | instid1(VALU_DEP_1)
	v_lshlrev_b64_e32 v[14:15], 2, v[10:11]
	v_add_co_u32 v14, vcc_lo, s6, v14
	s_wait_alu 0xfffd
	s_delay_alu instid0(VALU_DEP_2)
	v_add_co_ci_u32_e64 v15, null, s7, v15, vcc_lo
	global_load_b32 v11, v[14:15], off
	v_mov_b32_e32 v14, 0x200
	s_wait_loadcnt 0x0
	v_mul_lo_u32 v16, 0x67, v11
	s_branch .LBB18_21
.LBB18_13:                              ;   in Loop: Header=BB18_21 Depth=2
	s_or_b32 exec_lo, exec_lo, s37
	s_delay_alu instid0(SALU_CYCLE_1)
	s_or_not1_b32 s35, s35, exec_lo
	s_or_not1_b32 s36, s36, exec_lo
.LBB18_14:                              ;   in Loop: Header=BB18_21 Depth=2
	s_or_b32 exec_lo, exec_lo, s34
	s_delay_alu instid0(SALU_CYCLE_1)
	s_and_b32 s35, s35, exec_lo
	s_or_not1_b32 s34, s36, exec_lo
.LBB18_15:                              ;   in Loop: Header=BB18_21 Depth=2
	s_or_b32 exec_lo, exec_lo, s33
	s_delay_alu instid0(SALU_CYCLE_1)
	s_or_not1_b32 s33, s35, exec_lo
	s_or_not1_b32 s34, s34, exec_lo
.LBB18_16:                              ;   in Loop: Header=BB18_21 Depth=2
	s_or_b32 exec_lo, exec_lo, s31
	s_delay_alu instid0(SALU_CYCLE_1)
	s_and_b32 s33, s33, exec_lo
	s_or_not1_b32 s31, s34, exec_lo
.LBB18_17:                              ;   in Loop: Header=BB18_21 Depth=2
	s_wait_alu 0xfffe
	s_or_b32 exec_lo, exec_lo, s27
	s_delay_alu instid0(SALU_CYCLE_1)
	s_or_not1_b32 s27, s33, exec_lo
	s_or_not1_b32 s31, s31, exec_lo
.LBB18_18:                              ;   in Loop: Header=BB18_21 Depth=2
	s_wait_alu 0xfffe
	s_or_b32 exec_lo, exec_lo, s26
	s_delay_alu instid0(SALU_CYCLE_1)
	s_and_b32 s27, s27, exec_lo
	s_or_not1_b32 s26, s31, exec_lo
.LBB18_19:                              ;   in Loop: Header=BB18_21 Depth=2
	s_wait_alu 0xfffe
	s_or_b32 exec_lo, exec_lo, s25
	s_delay_alu instid0(SALU_CYCLE_1)
	s_and_not1_b32 s23, s23, exec_lo
	s_and_b32 s25, s27, exec_lo
	s_and_not1_b32 s22, s22, exec_lo
	s_and_b32 s26, s26, exec_lo
	s_wait_alu 0xfffe
	s_or_b32 s23, s23, s25
	s_or_b32 s22, s22, s26
.LBB18_20:                              ;   in Loop: Header=BB18_21 Depth=2
	s_wait_alu 0xfffe
	s_or_b32 exec_lo, exec_lo, s24
	s_delay_alu instid0(SALU_CYCLE_1)
	s_and_b32 s24, exec_lo, s22
	s_wait_alu 0xfffe
	s_or_b32 s14, s24, s14
	s_and_not1_b32 s15, s15, exec_lo
	s_and_b32 s24, s23, exec_lo
	s_wait_alu 0xfffe
	s_or_b32 s15, s15, s24
	s_and_not1_b32 exec_lo, exec_lo, s14
	s_cbranch_execz .LBB18_30
.LBB18_21:                              ;   Parent Loop BB18_12 Depth=1
                                        ; =>  This Inner Loop Header: Depth=2
	s_delay_alu instid0(VALU_DEP_1) | instskip(SKIP_3) | instid1(VALU_DEP_1)
	v_and_b32_e32 v15, 0x1ff, v16
	s_or_b32 s23, s23, exec_lo
	s_or_b32 s22, s22, exec_lo
	s_mov_b32 s24, exec_lo
	v_lshl_add_u32 v17, v15, 2, v19
	ds_load_b32 v20, v17
	s_wait_dscnt 0x0
	v_cmpx_ne_u32_e64 v20, v11
	s_cbranch_execz .LBB18_20
; %bb.22:                               ;   in Loop: Header=BB18_21 Depth=2
	ds_cmpstore_rtn_b32 v17, v17, v11, v13
	s_mov_b32 s26, -1
	s_mov_b32 s27, 0
	s_mov_b32 s25, exec_lo
	s_wait_dscnt 0x0
	v_cmpx_ne_u32_e32 -1, v17
	s_cbranch_execz .LBB18_19
; %bb.23:                               ;   in Loop: Header=BB18_21 Depth=2
	v_add_nc_u32_e32 v15, 1, v16
	s_mov_b32 s31, -1
	s_mov_b32 s27, -1
	s_mov_b32 s26, exec_lo
	s_delay_alu instid0(VALU_DEP_1) | instskip(NEXT) | instid1(VALU_DEP_1)
	v_and_b32_e32 v15, 0x1ff, v15
	v_lshl_add_u32 v17, v15, 2, v19
	ds_load_b32 v20, v17
	s_wait_dscnt 0x0
	v_cmpx_ne_u32_e64 v20, v11
	s_cbranch_execz .LBB18_18
; %bb.24:                               ;   in Loop: Header=BB18_21 Depth=2
	ds_cmpstore_rtn_b32 v17, v17, v11, v13
	s_mov_b32 s33, 0
	s_mov_b32 s27, exec_lo
	s_wait_dscnt 0x0
	v_cmpx_ne_u32_e32 -1, v17
	s_cbranch_execz .LBB18_17
; %bb.25:                               ;   in Loop: Header=BB18_21 Depth=2
	v_add_nc_u32_e32 v15, 2, v16
	s_mov_b32 s34, -1
	s_mov_b32 s33, -1
	s_mov_b32 s31, exec_lo
	s_delay_alu instid0(VALU_DEP_1) | instskip(NEXT) | instid1(VALU_DEP_1)
	v_and_b32_e32 v15, 0x1ff, v15
	v_lshl_add_u32 v17, v15, 2, v19
	ds_load_b32 v20, v17
	s_wait_dscnt 0x0
	v_cmpx_ne_u32_e64 v20, v11
	s_cbranch_execz .LBB18_16
; %bb.26:                               ;   in Loop: Header=BB18_21 Depth=2
	ds_cmpstore_rtn_b32 v17, v17, v11, v13
	s_mov_b32 s35, 0
	s_mov_b32 s33, exec_lo
	s_wait_dscnt 0x0
	v_cmpx_ne_u32_e32 -1, v17
	s_cbranch_execz .LBB18_15
; %bb.27:                               ;   in Loop: Header=BB18_21 Depth=2
	v_add_nc_u32_e32 v15, 3, v16
	s_mov_b32 s36, -1
	s_mov_b32 s35, -1
	s_delay_alu instid0(VALU_DEP_1) | instskip(NEXT) | instid1(VALU_DEP_1)
	v_and_b32_e32 v15, 0x1ff, v15
	v_lshl_add_u32 v17, v15, 2, v19
	ds_load_b32 v16, v17
	s_wait_dscnt 0x0
	v_cmp_ne_u32_e32 vcc_lo, v16, v11
                                        ; implicit-def: $vgpr16
	s_and_saveexec_b32 s34, vcc_lo
	s_cbranch_execz .LBB18_14
; %bb.28:                               ;   in Loop: Header=BB18_21 Depth=2
	ds_cmpstore_rtn_b32 v16, v17, v11, v13
	s_mov_b32 s35, 0
	s_wait_dscnt 0x0
	v_cmp_ne_u32_e32 vcc_lo, -1, v16
                                        ; implicit-def: $vgpr16
	s_and_saveexec_b32 s37, vcc_lo
	s_cbranch_execz .LBB18_13
; %bb.29:                               ;   in Loop: Header=BB18_21 Depth=2
	v_add_nc_u32_e32 v14, -4, v14
	v_add_nc_u32_e32 v16, 1, v15
	s_mov_b32 s35, exec_lo
	s_delay_alu instid0(VALU_DEP_2)
	v_cmp_eq_u32_e32 vcc_lo, 0, v14
	s_or_not1_b32 s36, vcc_lo, exec_lo
	s_branch .LBB18_13
.LBB18_30:                              ;   in Loop: Header=BB18_12 Depth=1
	s_or_b32 exec_lo, exec_lo, s14
	s_xor_b32 s14, s15, -1
	s_delay_alu instid0(SALU_CYCLE_1) | instskip(NEXT) | instid1(SALU_CYCLE_1)
	s_and_saveexec_b32 s15, s14
	s_xor_b32 s14, exec_lo, s15
	s_cbranch_execz .LBB18_11
; %bb.31:                               ;   in Loop: Header=BB18_12 Depth=1
	v_lshl_add_u32 v11, v15, 2, v0
	ds_store_b32 v11, v10
	s_branch .LBB18_11
.LBB18_32:
	s_wait_alu 0xfffe
	s_or_b32 exec_lo, exec_lo, s2
	s_delay_alu instid0(SALU_CYCLE_1)
	s_mov_b32 s2, exec_lo
	s_wait_loadcnt_dscnt 0x0
	global_inv scope:SCOPE_SE
	v_cmpx_lt_i32_e64 v9, v8
	s_cbranch_execz .LBB18_62
; %bb.33:
	v_add_nc_u32_e32 v20, 1, v18
	s_mov_b32 s3, 0
	s_branch .LBB18_36
.LBB18_34:                              ;   in Loop: Header=BB18_36 Depth=1
	s_or_b32 exec_lo, exec_lo, s15
	v_add_nc_u32_e32 v9, 1, v9
	s_delay_alu instid0(VALU_DEP_1)
	v_cmp_ge_i32_e32 vcc_lo, v9, v8
	s_or_not1_b32 s15, vcc_lo, exec_lo
.LBB18_35:                              ;   in Loop: Header=BB18_36 Depth=1
	s_or_b32 exec_lo, exec_lo, s14
	s_delay_alu instid0(SALU_CYCLE_1)
	s_and_b32 s14, exec_lo, s15
	s_wait_alu 0xfffe
	s_or_b32 s3, s14, s3
	s_wait_alu 0xfffe
	s_and_not1_b32 exec_lo, exec_lo, s3
	s_cbranch_execz .LBB18_62
.LBB18_36:                              ; =>This Loop Header: Depth=1
                                        ;     Child Loop BB18_37 Depth 2
                                        ;     Child Loop BB18_42 Depth 2
                                        ;       Child Loop BB18_51 Depth 3
	v_ashrrev_i32_e32 v10, 31, v9
	s_mov_b32 s14, 0
	s_delay_alu instid0(VALU_DEP_1) | instskip(SKIP_1) | instid1(VALU_DEP_2)
	v_lshlrev_b64_e32 v[11:12], 2, v[9:10]
	v_lshlrev_b64_e32 v[13:14], 3, v[9:10]
	v_add_co_u32 v11, vcc_lo, s6, v11
	s_wait_alu 0xfffd
	s_delay_alu instid0(VALU_DEP_3) | instskip(NEXT) | instid1(VALU_DEP_3)
	v_add_co_ci_u32_e64 v12, null, s7, v12, vcc_lo
	v_add_co_u32 v13, vcc_lo, s8, v13
	s_wait_alu 0xfffd
	v_add_co_ci_u32_e64 v14, null, s9, v14, vcc_lo
	global_load_b32 v11, v[11:12], off
	s_wait_loadcnt 0x0
	v_subrev_nc_u32_e32 v11, s28, v11
	s_delay_alu instid0(VALU_DEP_1) | instskip(NEXT) | instid1(VALU_DEP_1)
	v_ashrrev_i32_e32 v12, 31, v11
	v_lshlrev_b64_e32 v[15:16], 2, v[11:12]
	s_delay_alu instid0(VALU_DEP_1) | instskip(SKIP_1) | instid1(VALU_DEP_2)
	v_add_co_u32 v21, vcc_lo, s4, v15
	s_wait_alu 0xfffd
	v_add_co_ci_u32_e64 v22, null, s5, v16, vcc_lo
	v_add_co_u32 v23, vcc_lo, s10, v15
	s_wait_alu 0xfffd
	v_add_co_ci_u32_e64 v24, null, s11, v16, vcc_lo
	global_load_b64 v[10:11], v[13:14], off
	global_load_b32 v12, v[21:22], off offset:4
	global_load_b32 v17, v[23:24], off
	v_add_co_u32 v15, vcc_lo, s12, v15
	s_wait_alu 0xfffd
	v_add_co_ci_u32_e64 v16, null, s13, v16, vcc_lo
.LBB18_37:                              ;   Parent Loop BB18_36 Depth=1
                                        ; =>  This Inner Loop Header: Depth=2
	global_load_b32 v21, v[15:16], off scope:SCOPE_DEV
	s_wait_loadcnt 0x0
	v_cmp_ne_u32_e32 vcc_lo, 0, v21
	s_or_b32 s14, vcc_lo, s14
	s_delay_alu instid0(SALU_CYCLE_1)
	s_and_not1_b32 exec_lo, exec_lo, s14
	s_cbranch_execnz .LBB18_37
; %bb.38:                               ;   in Loop: Header=BB18_36 Depth=1
	s_or_b32 exec_lo, exec_lo, s14
	v_subrev_nc_u32_e32 v21, s28, v12
	v_cmp_eq_u32_e32 vcc_lo, -1, v17
	global_inv scope:SCOPE_DEV
	s_mov_b32 s15, -1
	s_mov_b32 s14, exec_lo
	v_add_nc_u32_e32 v12, -1, v21
	s_wait_alu 0xfffd
	s_delay_alu instid0(VALU_DEP_1) | instskip(NEXT) | instid1(VALU_DEP_1)
	v_cndmask_b32_e32 v15, v17, v12, vcc_lo
	v_ashrrev_i32_e32 v16, 31, v15
	s_delay_alu instid0(VALU_DEP_1) | instskip(NEXT) | instid1(VALU_DEP_1)
	v_lshlrev_b64_e32 v[16:17], 3, v[15:16]
	v_add_co_u32 v16, vcc_lo, s8, v16
	s_wait_alu 0xfffd
	s_delay_alu instid0(VALU_DEP_2)
	v_add_co_ci_u32_e64 v17, null, s9, v17, vcc_lo
	global_load_b64 v[16:17], v[16:17], off
	s_wait_loadcnt 0x0
	v_cmpx_neq_f64_e32 0, v[16:17]
	s_cbranch_execz .LBB18_35
; %bb.39:                               ;   in Loop: Header=BB18_36 Depth=1
	v_div_scale_f64 v[22:23], null, v[16:17], v[16:17], v[10:11]
	v_add_nc_u32_e32 v12, v20, v15
	s_mov_b32 s15, exec_lo
	s_delay_alu instid0(VALU_DEP_2) | instskip(NEXT) | instid1(TRANS32_DEP_1)
	v_rcp_f64_e32 v[24:25], v[22:23]
	v_fma_f64 v[26:27], -v[22:23], v[24:25], 1.0
	s_delay_alu instid0(VALU_DEP_1) | instskip(NEXT) | instid1(VALU_DEP_1)
	v_fma_f64 v[24:25], v[24:25], v[26:27], v[24:25]
	v_fma_f64 v[26:27], -v[22:23], v[24:25], 1.0
	s_delay_alu instid0(VALU_DEP_1) | instskip(SKIP_1) | instid1(VALU_DEP_1)
	v_fma_f64 v[24:25], v[24:25], v[26:27], v[24:25]
	v_div_scale_f64 v[26:27], vcc_lo, v[10:11], v[16:17], v[10:11]
	v_mul_f64_e32 v[28:29], v[26:27], v[24:25]
	s_delay_alu instid0(VALU_DEP_1) | instskip(SKIP_1) | instid1(VALU_DEP_1)
	v_fma_f64 v[22:23], -v[22:23], v[28:29], v[26:27]
	s_wait_alu 0xfffd
	v_div_fmas_f64 v[22:23], v[22:23], v[24:25], v[28:29]
	s_delay_alu instid0(VALU_DEP_1)
	v_div_fixup_f64 v[10:11], v[22:23], v[16:17], v[10:11]
	global_store_b64 v[13:14], v[10:11], off
	v_cmpx_lt_i32_e64 v12, v21
	s_cbranch_execz .LBB18_34
; %bb.40:                               ;   in Loop: Header=BB18_36 Depth=1
	s_mov_b32 s22, 0
	s_branch .LBB18_42
.LBB18_41:                              ;   in Loop: Header=BB18_42 Depth=2
	s_or_b32 exec_lo, exec_lo, s23
	v_add_nc_u32_e32 v12, 32, v12
	s_delay_alu instid0(VALU_DEP_1) | instskip(SKIP_1) | instid1(SALU_CYCLE_1)
	v_cmp_ge_i32_e32 vcc_lo, v12, v21
	s_or_b32 s22, vcc_lo, s22
	s_and_not1_b32 exec_lo, exec_lo, s22
	s_cbranch_execz .LBB18_34
.LBB18_42:                              ;   Parent Loop BB18_36 Depth=1
                                        ; =>  This Loop Header: Depth=2
                                        ;       Child Loop BB18_51 Depth 3
	v_ashrrev_i32_e32 v13, 31, v12
	s_mov_b32 s23, 0
                                        ; implicit-def: $sgpr24
                                        ; implicit-def: $sgpr25
                                        ; implicit-def: $sgpr26
	s_delay_alu instid0(VALU_DEP_1) | instskip(NEXT) | instid1(VALU_DEP_1)
	v_lshlrev_b64_e32 v[14:15], 2, v[12:13]
	v_add_co_u32 v14, vcc_lo, s6, v14
	s_wait_alu 0xfffd
	s_delay_alu instid0(VALU_DEP_2)
	v_add_co_ci_u32_e64 v15, null, s7, v15, vcc_lo
	global_load_b32 v14, v[14:15], off
	v_mov_b32_e32 v15, 0x200
	s_wait_loadcnt 0x0
	v_mul_lo_u32 v17, 0x67, v14
	s_branch .LBB18_51
.LBB18_43:                              ;   in Loop: Header=BB18_51 Depth=3
	s_or_b32 exec_lo, exec_lo, s40
	s_delay_alu instid0(SALU_CYCLE_1)
	s_or_not1_b32 s38, s38, exec_lo
	s_or_not1_b32 s39, s39, exec_lo
.LBB18_44:                              ;   in Loop: Header=BB18_51 Depth=3
	s_or_b32 exec_lo, exec_lo, s37
	s_delay_alu instid0(SALU_CYCLE_1)
	s_and_b32 s38, s38, exec_lo
	s_or_not1_b32 s37, s39, exec_lo
.LBB18_45:                              ;   in Loop: Header=BB18_51 Depth=3
	s_or_b32 exec_lo, exec_lo, s36
	s_delay_alu instid0(SALU_CYCLE_1)
	s_or_not1_b32 s36, s38, exec_lo
	s_or_not1_b32 s37, s37, exec_lo
.LBB18_46:                              ;   in Loop: Header=BB18_51 Depth=3
	s_or_b32 exec_lo, exec_lo, s35
	s_delay_alu instid0(SALU_CYCLE_1)
	s_and_b32 s36, s36, exec_lo
	s_or_not1_b32 s35, s37, exec_lo
.LBB18_47:                              ;   in Loop: Header=BB18_51 Depth=3
	s_or_b32 exec_lo, exec_lo, s34
	s_delay_alu instid0(SALU_CYCLE_1)
	s_or_not1_b32 s34, s36, exec_lo
	s_or_not1_b32 s35, s35, exec_lo
.LBB18_48:                              ;   in Loop: Header=BB18_51 Depth=3
	s_or_b32 exec_lo, exec_lo, s33
	s_delay_alu instid0(SALU_CYCLE_1)
	s_and_b32 s34, s34, exec_lo
	s_or_not1_b32 s33, s35, exec_lo
.LBB18_49:                              ;   in Loop: Header=BB18_51 Depth=3
	s_or_b32 exec_lo, exec_lo, s31
	s_wait_alu 0xfffe
	s_and_not1_b32 s26, s26, exec_lo
	s_and_b32 s31, s34, exec_lo
	s_and_not1_b32 s25, s25, exec_lo
	s_and_b32 s33, s33, exec_lo
	s_wait_alu 0xfffe
	s_or_b32 s26, s26, s31
	s_or_b32 s25, s25, s33
.LBB18_50:                              ;   in Loop: Header=BB18_51 Depth=3
	s_wait_alu 0xfffe
	s_or_b32 exec_lo, exec_lo, s27
	s_delay_alu instid0(SALU_CYCLE_1)
	s_and_b32 s27, exec_lo, s25
	s_wait_alu 0xfffe
	s_or_b32 s23, s27, s23
	s_and_not1_b32 s24, s24, exec_lo
	s_and_b32 s27, s26, exec_lo
	s_wait_alu 0xfffe
	s_or_b32 s24, s24, s27
	s_and_not1_b32 exec_lo, exec_lo, s23
	s_cbranch_execz .LBB18_60
.LBB18_51:                              ;   Parent Loop BB18_36 Depth=1
                                        ;     Parent Loop BB18_42 Depth=2
                                        ; =>    This Inner Loop Header: Depth=3
	s_delay_alu instid0(VALU_DEP_1) | instskip(SKIP_3) | instid1(VALU_DEP_1)
	v_and_b32_e32 v16, 0x1ff, v17
	s_or_b32 s26, s26, exec_lo
	s_or_b32 s25, s25, exec_lo
	s_mov_b32 s27, exec_lo
	v_lshl_add_u32 v22, v16, 2, v19
	ds_load_b32 v22, v22
	s_wait_dscnt 0x0
	v_cmpx_ne_u32_e32 -1, v22
	s_cbranch_execz .LBB18_50
; %bb.52:                               ;   in Loop: Header=BB18_51 Depth=3
	s_mov_b32 s33, -1
	s_mov_b32 s34, 0
	s_mov_b32 s31, exec_lo
	v_cmpx_ne_u32_e64 v22, v14
	s_cbranch_execz .LBB18_49
; %bb.53:                               ;   in Loop: Header=BB18_51 Depth=3
	v_add_nc_u32_e32 v16, 1, v17
	s_mov_b32 s35, -1
	s_mov_b32 s34, -1
	s_mov_b32 s33, exec_lo
	s_delay_alu instid0(VALU_DEP_1) | instskip(NEXT) | instid1(VALU_DEP_1)
	v_and_b32_e32 v16, 0x1ff, v16
	v_lshl_add_u32 v22, v16, 2, v19
	ds_load_b32 v22, v22
	s_wait_dscnt 0x0
	v_cmpx_ne_u32_e32 -1, v22
	s_cbranch_execz .LBB18_48
; %bb.54:                               ;   in Loop: Header=BB18_51 Depth=3
	s_mov_b32 s36, 0
	s_mov_b32 s34, exec_lo
	v_cmpx_ne_u32_e64 v22, v14
	s_cbranch_execz .LBB18_47
; %bb.55:                               ;   in Loop: Header=BB18_51 Depth=3
	v_add_nc_u32_e32 v16, 2, v17
	s_mov_b32 s37, -1
	s_mov_b32 s36, -1
	s_mov_b32 s35, exec_lo
	s_delay_alu instid0(VALU_DEP_1) | instskip(NEXT) | instid1(VALU_DEP_1)
	v_and_b32_e32 v16, 0x1ff, v16
	v_lshl_add_u32 v22, v16, 2, v19
	ds_load_b32 v22, v22
	s_wait_dscnt 0x0
	v_cmpx_ne_u32_e32 -1, v22
	s_cbranch_execz .LBB18_46
; %bb.56:                               ;   in Loop: Header=BB18_51 Depth=3
	s_mov_b32 s38, 0
	s_mov_b32 s36, exec_lo
	v_cmpx_ne_u32_e64 v22, v14
	s_cbranch_execz .LBB18_45
; %bb.57:                               ;   in Loop: Header=BB18_51 Depth=3
	v_add_nc_u32_e32 v16, 3, v17
	s_mov_b32 s39, -1
	s_mov_b32 s38, -1
	s_mov_b32 s37, exec_lo
	s_delay_alu instid0(VALU_DEP_1) | instskip(NEXT) | instid1(VALU_DEP_1)
	v_and_b32_e32 v16, 0x1ff, v16
	v_lshl_add_u32 v17, v16, 2, v19
	ds_load_b32 v22, v17
                                        ; implicit-def: $vgpr17
	s_wait_dscnt 0x0
	v_cmpx_ne_u32_e32 -1, v22
	s_cbranch_execz .LBB18_44
; %bb.58:                               ;   in Loop: Header=BB18_51 Depth=3
	s_mov_b32 s38, 0
	s_mov_b32 s40, exec_lo
                                        ; implicit-def: $vgpr17
	v_cmpx_ne_u32_e64 v22, v14
	s_cbranch_execz .LBB18_43
; %bb.59:                               ;   in Loop: Header=BB18_51 Depth=3
	v_add_nc_u32_e32 v15, -4, v15
	v_add_nc_u32_e32 v17, 1, v16
	s_mov_b32 s38, exec_lo
	s_delay_alu instid0(VALU_DEP_2)
	v_cmp_eq_u32_e32 vcc_lo, 0, v15
	s_or_not1_b32 s39, vcc_lo, exec_lo
	s_branch .LBB18_43
.LBB18_60:                              ;   in Loop: Header=BB18_42 Depth=2
	s_or_b32 exec_lo, exec_lo, s23
	s_wait_alu 0xfffe
	s_xor_b32 s23, s24, -1
	s_delay_alu instid0(SALU_CYCLE_1)
	s_and_saveexec_b32 s24, s23
	s_wait_alu 0xfffe
	s_xor_b32 s23, exec_lo, s24
	s_cbranch_execz .LBB18_41
; %bb.61:                               ;   in Loop: Header=BB18_42 Depth=2
	v_lshl_add_u32 v14, v16, 2, v0
	v_lshlrev_b64_e32 v[16:17], 3, v[12:13]
	ds_load_b32 v14, v14
	s_wait_dscnt 0x0
	v_ashrrev_i32_e32 v15, 31, v14
	s_delay_alu instid0(VALU_DEP_1) | instskip(SKIP_3) | instid1(VALU_DEP_3)
	v_lshlrev_b64_e32 v[13:14], 3, v[14:15]
	v_add_co_u32 v15, vcc_lo, s8, v16
	s_wait_alu 0xfffd
	v_add_co_ci_u32_e64 v16, null, s9, v17, vcc_lo
	v_add_co_u32 v13, vcc_lo, s8, v13
	s_wait_alu 0xfffd
	v_add_co_ci_u32_e64 v14, null, s9, v14, vcc_lo
	s_clause 0x1
	global_load_b64 v[15:16], v[15:16], off
	global_load_b64 v[22:23], v[13:14], off
	s_wait_loadcnt 0x0
	v_fma_f64 v[15:16], -v[10:11], v[15:16], v[22:23]
	global_store_b64 v[13:14], v[15:16], off
	s_branch .LBB18_41
.LBB18_62:
	s_wait_alu 0xfffe
	s_or_b32 exec_lo, exec_lo, s2
	s_mov_b32 s4, -1
	s_mov_b32 s3, exec_lo
	s_wait_loadcnt 0x0
	s_wait_storecnt 0x0
	global_inv scope:SCOPE_SE
	v_cmpx_lt_i32_e32 -1, v8
	s_cbranch_execz .LBB18_78
; %bb.63:
	v_mov_b32_e32 v9, 0
	v_cmp_eq_u32_e64 s2, 0, v18
	s_delay_alu instid0(VALU_DEP_2) | instskip(NEXT) | instid1(VALU_DEP_1)
	v_lshlrev_b64_e32 v[8:9], 3, v[8:9]
	v_add_co_u32 v12, vcc_lo, s8, v8
	s_wait_alu 0xfffd
	s_delay_alu instid0(VALU_DEP_2)
	v_add_co_ci_u32_e64 v13, null, s9, v9, vcc_lo
	global_load_b64 v[8:9], v[12:13], off
	s_wait_loadcnt 0x0
	v_cmp_gt_f64_e32 vcc_lo, 0, v[8:9]
	v_xor_b32_e32 v0, 0x80000000, v9
	s_wait_alu 0xfffd
	s_delay_alu instid0(VALU_DEP_1)
	v_dual_mov_b32 v10, v8 :: v_dual_cndmask_b32 v11, v9, v0
	s_and_not1_b32 vcc_lo, exec_lo, s29
	s_wait_alu 0xfffe
	s_cbranch_vccnz .LBB18_67
; %bb.64:
	v_cvt_f64_f32_e32 v[14:15], s30
	s_cmp_eq_u64 s[20:21], 8
	s_cselect_b32 vcc_lo, -1, 0
	s_wait_alu 0xfffe
	s_delay_alu instid0(VALU_DEP_1) | instskip(NEXT) | instid1(VALU_DEP_1)
	v_dual_cndmask_b32 v4, v15, v4 :: v_dual_cndmask_b32 v3, v14, v3
	v_cmp_le_f64_e32 vcc_lo, v[10:11], v[3:4]
	s_and_b32 s5, s2, vcc_lo
	s_wait_alu 0xfffe
	s_and_saveexec_b32 s4, s5
	s_cbranch_execz .LBB18_66
; %bb.65:
	global_store_b64 v[12:13], v[5:6], off
	s_wait_storecnt 0x0
	global_inv scope:SCOPE_DEV
.LBB18_66:
	s_wait_alu 0xfffe
	s_or_b32 exec_lo, exec_lo, s4
	s_mov_b32 s4, 0
.LBB18_67:
	s_wait_alu 0xfffe
	s_and_not1_b32 vcc_lo, exec_lo, s4
	s_wait_alu 0xfffe
	s_cbranch_vccnz .LBB18_78
; %bb.68:
	s_load_b64 s[0:1], s[0:1], 0x48
	v_add_nc_u32_e32 v0, s28, v7
	s_wait_kmcnt 0x0
	v_cmp_ge_f64_e32 vcc_lo, s[0:1], v[10:11]
	s_and_b32 s1, s2, vcc_lo
	s_wait_alu 0xfffe
	s_and_saveexec_b32 s0, s1
	s_cbranch_execz .LBB18_73
; %bb.69:
	s_mov_b32 s4, exec_lo
	s_brev_b32 s1, -2
.LBB18_70:                              ; =>This Inner Loop Header: Depth=1
	s_wait_alu 0xfffe
	s_ctz_i32_b32 s5, s4
	s_wait_alu 0xfffe
	v_readlane_b32 s6, v0, s5
	s_lshl_b32 s5, 1, s5
	s_wait_alu 0xfffe
	s_and_not1_b32 s4, s4, s5
	s_min_i32 s1, s1, s6
	s_wait_alu 0xfffe
	s_cmp_lg_u32 s4, 0
	s_cbranch_scc1 .LBB18_70
; %bb.71:
	v_mbcnt_lo_u32_b32 v3, exec_lo, 0
	s_mov_b32 s4, exec_lo
	s_delay_alu instid0(VALU_DEP_1)
	v_cmpx_eq_u32_e32 0, v3
	s_wait_alu 0xfffe
	s_xor_b32 s4, exec_lo, s4
	s_cbranch_execz .LBB18_73
; %bb.72:
	v_dual_mov_b32 v3, 0 :: v_dual_mov_b32 v4, s1
	global_atomic_min_i32 v3, v4, s[18:19] scope:SCOPE_DEV
.LBB18_73:
	s_wait_alu 0xfffe
	s_or_b32 exec_lo, exec_lo, s0
	v_cmp_eq_f64_e32 vcc_lo, 0, v[8:9]
	s_and_b32 s0, s2, vcc_lo
	s_wait_alu 0xfffe
	s_and_b32 exec_lo, exec_lo, s0
	s_cbranch_execz .LBB18_78
; %bb.74:
	s_mov_b32 s1, exec_lo
	s_brev_b32 s0, -2
.LBB18_75:                              ; =>This Inner Loop Header: Depth=1
	s_wait_alu 0xfffe
	s_ctz_i32_b32 s2, s1
	s_wait_alu 0xfffe
	v_readlane_b32 s4, v0, s2
	s_lshl_b32 s2, 1, s2
	s_wait_alu 0xfffe
	s_and_not1_b32 s1, s1, s2
	s_min_i32 s0, s0, s4
	s_wait_alu 0xfffe
	s_cmp_lg_u32 s1, 0
	s_cbranch_scc1 .LBB18_75
; %bb.76:
	v_mbcnt_lo_u32_b32 v0, exec_lo, 0
	s_mov_b32 s1, exec_lo
	s_delay_alu instid0(VALU_DEP_1)
	v_cmpx_eq_u32_e32 0, v0
	s_wait_alu 0xfffe
	s_xor_b32 s1, exec_lo, s1
	s_cbranch_execz .LBB18_78
; %bb.77:
	v_dual_mov_b32 v0, 0 :: v_dual_mov_b32 v3, s0
	global_atomic_min_i32 v0, v3, s[16:17] scope:SCOPE_DEV
.LBB18_78:
	s_wait_alu 0xfffe
	s_or_b32 exec_lo, exec_lo, s3
	v_cmp_eq_u32_e32 vcc_lo, 0, v18
	s_wait_loadcnt 0x0
	s_wait_storecnt 0x0
	global_inv scope:SCOPE_DEV
	s_and_b32 exec_lo, exec_lo, vcc_lo
	s_cbranch_execz .LBB18_80
; %bb.79:
	v_add_co_u32 v0, vcc_lo, s12, v1
	s_wait_alu 0xfffd
	v_add_co_ci_u32_e64 v1, null, s13, v2, vcc_lo
	v_mov_b32_e32 v2, 1
	s_wait_loadcnt 0x0
	global_store_b32 v[0:1], v2, off scope:SCOPE_DEV
.LBB18_80:
	s_endpgm
	.section	.rodata,"a",@progbits
	.p2align	6, 0x0
	.amdhsa_kernel _ZN9rocsparseL12csrilu0_hashILj256ELj32ELj16EdEEviPKiS2_PT2_S2_PiS2_S5_S5_d21rocsparse_index_base_imNS_24const_host_device_scalarIfEENS7_IdEENS7_IS3_EEb
		.amdhsa_group_segment_fixed_size 32768
		.amdhsa_private_segment_fixed_size 0
		.amdhsa_kernarg_size 124
		.amdhsa_user_sgpr_count 2
		.amdhsa_user_sgpr_dispatch_ptr 0
		.amdhsa_user_sgpr_queue_ptr 0
		.amdhsa_user_sgpr_kernarg_segment_ptr 1
		.amdhsa_user_sgpr_dispatch_id 0
		.amdhsa_user_sgpr_private_segment_size 0
		.amdhsa_wavefront_size32 1
		.amdhsa_uses_dynamic_stack 0
		.amdhsa_enable_private_segment 0
		.amdhsa_system_sgpr_workgroup_id_x 1
		.amdhsa_system_sgpr_workgroup_id_y 0
		.amdhsa_system_sgpr_workgroup_id_z 0
		.amdhsa_system_sgpr_workgroup_info 0
		.amdhsa_system_vgpr_workitem_id 0
		.amdhsa_next_free_vgpr 169
		.amdhsa_next_free_sgpr 41
		.amdhsa_reserve_vcc 1
		.amdhsa_float_round_mode_32 0
		.amdhsa_float_round_mode_16_64 0
		.amdhsa_float_denorm_mode_32 3
		.amdhsa_float_denorm_mode_16_64 3
		.amdhsa_fp16_overflow 0
		.amdhsa_workgroup_processor_mode 1
		.amdhsa_memory_ordered 1
		.amdhsa_forward_progress 1
		.amdhsa_inst_pref_size 26
		.amdhsa_round_robin_scheduling 0
		.amdhsa_exception_fp_ieee_invalid_op 0
		.amdhsa_exception_fp_denorm_src 0
		.amdhsa_exception_fp_ieee_div_zero 0
		.amdhsa_exception_fp_ieee_overflow 0
		.amdhsa_exception_fp_ieee_underflow 0
		.amdhsa_exception_fp_ieee_inexact 0
		.amdhsa_exception_int_div_zero 0
	.end_amdhsa_kernel
	.section	.text._ZN9rocsparseL12csrilu0_hashILj256ELj32ELj16EdEEviPKiS2_PT2_S2_PiS2_S5_S5_d21rocsparse_index_base_imNS_24const_host_device_scalarIfEENS7_IdEENS7_IS3_EEb,"axG",@progbits,_ZN9rocsparseL12csrilu0_hashILj256ELj32ELj16EdEEviPKiS2_PT2_S2_PiS2_S5_S5_d21rocsparse_index_base_imNS_24const_host_device_scalarIfEENS7_IdEENS7_IS3_EEb,comdat
.Lfunc_end18:
	.size	_ZN9rocsparseL12csrilu0_hashILj256ELj32ELj16EdEEviPKiS2_PT2_S2_PiS2_S5_S5_d21rocsparse_index_base_imNS_24const_host_device_scalarIfEENS7_IdEENS7_IS3_EEb, .Lfunc_end18-_ZN9rocsparseL12csrilu0_hashILj256ELj32ELj16EdEEviPKiS2_PT2_S2_PiS2_S5_S5_d21rocsparse_index_base_imNS_24const_host_device_scalarIfEENS7_IdEENS7_IS3_EEb
                                        ; -- End function
	.set _ZN9rocsparseL12csrilu0_hashILj256ELj32ELj16EdEEviPKiS2_PT2_S2_PiS2_S5_S5_d21rocsparse_index_base_imNS_24const_host_device_scalarIfEENS7_IdEENS7_IS3_EEb.num_vgpr, 30
	.set _ZN9rocsparseL12csrilu0_hashILj256ELj32ELj16EdEEviPKiS2_PT2_S2_PiS2_S5_S5_d21rocsparse_index_base_imNS_24const_host_device_scalarIfEENS7_IdEENS7_IS3_EEb.num_agpr, 0
	.set _ZN9rocsparseL12csrilu0_hashILj256ELj32ELj16EdEEviPKiS2_PT2_S2_PiS2_S5_S5_d21rocsparse_index_base_imNS_24const_host_device_scalarIfEENS7_IdEENS7_IS3_EEb.numbered_sgpr, 41
	.set _ZN9rocsparseL12csrilu0_hashILj256ELj32ELj16EdEEviPKiS2_PT2_S2_PiS2_S5_S5_d21rocsparse_index_base_imNS_24const_host_device_scalarIfEENS7_IdEENS7_IS3_EEb.num_named_barrier, 0
	.set _ZN9rocsparseL12csrilu0_hashILj256ELj32ELj16EdEEviPKiS2_PT2_S2_PiS2_S5_S5_d21rocsparse_index_base_imNS_24const_host_device_scalarIfEENS7_IdEENS7_IS3_EEb.private_seg_size, 0
	.set _ZN9rocsparseL12csrilu0_hashILj256ELj32ELj16EdEEviPKiS2_PT2_S2_PiS2_S5_S5_d21rocsparse_index_base_imNS_24const_host_device_scalarIfEENS7_IdEENS7_IS3_EEb.uses_vcc, 1
	.set _ZN9rocsparseL12csrilu0_hashILj256ELj32ELj16EdEEviPKiS2_PT2_S2_PiS2_S5_S5_d21rocsparse_index_base_imNS_24const_host_device_scalarIfEENS7_IdEENS7_IS3_EEb.uses_flat_scratch, 0
	.set _ZN9rocsparseL12csrilu0_hashILj256ELj32ELj16EdEEviPKiS2_PT2_S2_PiS2_S5_S5_d21rocsparse_index_base_imNS_24const_host_device_scalarIfEENS7_IdEENS7_IS3_EEb.has_dyn_sized_stack, 0
	.set _ZN9rocsparseL12csrilu0_hashILj256ELj32ELj16EdEEviPKiS2_PT2_S2_PiS2_S5_S5_d21rocsparse_index_base_imNS_24const_host_device_scalarIfEENS7_IdEENS7_IS3_EEb.has_recursion, 0
	.set _ZN9rocsparseL12csrilu0_hashILj256ELj32ELj16EdEEviPKiS2_PT2_S2_PiS2_S5_S5_d21rocsparse_index_base_imNS_24const_host_device_scalarIfEENS7_IdEENS7_IS3_EEb.has_indirect_call, 0
	.section	.AMDGPU.csdata,"",@progbits
; Kernel info:
; codeLenInByte = 3264
; TotalNumSgprs: 43
; NumVgprs: 30
; ScratchSize: 0
; MemoryBound: 0
; FloatMode: 240
; IeeeMode: 1
; LDSByteSize: 32768 bytes/workgroup (compile time only)
; SGPRBlocks: 0
; VGPRBlocks: 21
; NumSGPRsForWavesPerEU: 43
; NumVGPRsForWavesPerEU: 169
; Occupancy: 8
; WaveLimiterHint : 1
; COMPUTE_PGM_RSRC2:SCRATCH_EN: 0
; COMPUTE_PGM_RSRC2:USER_SGPR: 2
; COMPUTE_PGM_RSRC2:TRAP_HANDLER: 0
; COMPUTE_PGM_RSRC2:TGID_X_EN: 1
; COMPUTE_PGM_RSRC2:TGID_Y_EN: 0
; COMPUTE_PGM_RSRC2:TGID_Z_EN: 0
; COMPUTE_PGM_RSRC2:TIDIG_COMP_CNT: 0
	.section	.text._ZN9rocsparseL17csrilu0_binsearchILj256ELj32ELb0EdEEviPKiS2_PT2_S2_PiS2_S5_S5_d21rocsparse_index_base_imNS_24const_host_device_scalarIfEENS7_IdEENS7_IS3_EEb,"axG",@progbits,_ZN9rocsparseL17csrilu0_binsearchILj256ELj32ELb0EdEEviPKiS2_PT2_S2_PiS2_S5_S5_d21rocsparse_index_base_imNS_24const_host_device_scalarIfEENS7_IdEENS7_IS3_EEb,comdat
	.globl	_ZN9rocsparseL17csrilu0_binsearchILj256ELj32ELb0EdEEviPKiS2_PT2_S2_PiS2_S5_S5_d21rocsparse_index_base_imNS_24const_host_device_scalarIfEENS7_IdEENS7_IS3_EEb ; -- Begin function _ZN9rocsparseL17csrilu0_binsearchILj256ELj32ELb0EdEEviPKiS2_PT2_S2_PiS2_S5_S5_d21rocsparse_index_base_imNS_24const_host_device_scalarIfEENS7_IdEENS7_IS3_EEb
	.p2align	8
	.type	_ZN9rocsparseL17csrilu0_binsearchILj256ELj32ELb0EdEEviPKiS2_PT2_S2_PiS2_S5_S5_d21rocsparse_index_base_imNS_24const_host_device_scalarIfEENS7_IdEENS7_IS3_EEb,@function
_ZN9rocsparseL17csrilu0_binsearchILj256ELj32ELb0EdEEviPKiS2_PT2_S2_PiS2_S5_S5_d21rocsparse_index_base_imNS_24const_host_device_scalarIfEENS7_IdEENS7_IS3_EEb: ; @_ZN9rocsparseL17csrilu0_binsearchILj256ELj32ELb0EdEEviPKiS2_PT2_S2_PiS2_S5_S5_d21rocsparse_index_base_imNS_24const_host_device_scalarIfEENS7_IdEENS7_IS3_EEb
; %bb.0:
	s_clause 0x2
	s_load_b32 s2, s[0:1], 0x78
	s_load_b64 s[28:29], s[0:1], 0x50
	s_load_b256 s[20:27], s[0:1], 0x58
	s_wait_kmcnt 0x0
	s_bitcmp1_b32 s2, 0
	s_cselect_b32 s2, -1, 0
	s_cmp_eq_u32 s29, 0
	s_cselect_b32 s4, -1, 0
	s_cmp_lg_u32 s29, 0
	s_cselect_b32 s29, -1, 0
	s_or_b32 s6, s4, s2
	s_delay_alu instid0(SALU_CYCLE_1)
	s_xor_b32 s5, s6, -1
	s_and_b32 s2, s4, exec_lo
	s_cselect_b32 s3, 0, s25
	s_cselect_b32 s2, 0, s24
	s_cselect_b32 s30, 0, s22
	s_and_b32 vcc_lo, exec_lo, s6
	s_cbranch_vccnz .LBB19_2
; %bb.1:
	s_load_b32 s30, s[22:23], 0x0
	s_mov_b64 s[2:3], s[24:25]
.LBB19_2:
	v_cndmask_b32_e64 v1, 0, 1, s5
	v_dual_mov_b32 v4, s3 :: v_dual_mov_b32 v3, s2
	s_and_not1_b32 vcc_lo, exec_lo, s5
	s_cbranch_vccnz .LBB19_4
; %bb.3:
	v_dual_mov_b32 v2, s24 :: v_dual_mov_b32 v3, s25
	flat_load_b64 v[3:4], v[2:3]
.LBB19_4:
	s_and_b32 s2, s4, exec_lo
	s_cselect_b32 s3, 0, s27
	v_cmp_ne_u32_e32 vcc_lo, 1, v1
	s_cselect_b32 s2, 0, s26
	s_wait_alu 0xfffe
	v_dual_mov_b32 v6, s3 :: v_dual_mov_b32 v5, s2
	s_cbranch_vccnz .LBB19_6
; %bb.5:
	v_dual_mov_b32 v1, s26 :: v_dual_mov_b32 v2, s27
	flat_load_b64 v[5:6], v[1:2]
.LBB19_6:
	s_load_b32 s2, s[0:1], 0x0
	v_lshrrev_b32_e32 v1, 5, v0
	s_lshl_b32 s3, ttmp9, 3
	s_wait_alu 0xfffe
	s_delay_alu instid0(VALU_DEP_1) | instskip(SKIP_1) | instid1(VALU_DEP_1)
	v_and_or_b32 v1, 0x7fffff8, s3, v1
	s_wait_kmcnt 0x0
	v_cmp_gt_i32_e32 vcc_lo, s2, v1
	s_and_saveexec_b32 s2, vcc_lo
	s_cbranch_execz .LBB19_42
; %bb.7:
	s_load_b512 s[4:19], s[0:1], 0x8
	v_lshlrev_b32_e32 v1, 2, v1
	v_and_b32_e32 v0, 31, v0
	s_mov_b32 s2, exec_lo
	s_wait_kmcnt 0x0
	global_load_b32 v7, v1, s[14:15]
	s_wait_loadcnt 0x0
	v_ashrrev_i32_e32 v8, 31, v7
	s_delay_alu instid0(VALU_DEP_1) | instskip(NEXT) | instid1(VALU_DEP_1)
	v_lshlrev_b64_e32 v[1:2], 2, v[7:8]
	v_add_co_u32 v10, vcc_lo, s4, v1
	s_delay_alu instid0(VALU_DEP_1)
	v_add_co_ci_u32_e64 v11, null, s5, v2, vcc_lo
	v_add_co_u32 v8, vcc_lo, s10, v1
	s_wait_alu 0xfffd
	v_add_co_ci_u32_e64 v9, null, s11, v2, vcc_lo
	global_load_b32 v12, v[10:11], off
	global_load_b32 v8, v[8:9], off
	s_wait_loadcnt 0x1
	v_subrev_nc_u32_e32 v9, s28, v12
	s_wait_loadcnt 0x0
	s_delay_alu instid0(VALU_DEP_1)
	v_cmpx_lt_i32_e64 v9, v8
	s_cbranch_execz .LBB19_24
; %bb.8:
	global_load_b32 v10, v[10:11], off offset:4
	v_add_nc_u32_e32 v18, 1, v0
	s_mov_b32 s3, 0
	s_wait_loadcnt 0x0
	v_xad_u32 v19, s28, -1, v10
	s_branch .LBB19_11
.LBB19_9:                               ;   in Loop: Header=BB19_11 Depth=1
	s_or_b32 exec_lo, exec_lo, s15
	v_cmp_ge_i32_e32 vcc_lo, v9, v8
	s_or_not1_b32 s15, vcc_lo, exec_lo
.LBB19_10:                              ;   in Loop: Header=BB19_11 Depth=1
	s_or_b32 exec_lo, exec_lo, s14
	s_delay_alu instid0(SALU_CYCLE_1)
	s_and_b32 s14, exec_lo, s15
	s_wait_alu 0xfffe
	s_or_b32 s3, s14, s3
	s_wait_alu 0xfffe
	s_and_not1_b32 exec_lo, exec_lo, s3
	s_cbranch_execz .LBB19_24
.LBB19_11:                              ; =>This Loop Header: Depth=1
                                        ;     Child Loop BB19_13 Depth 2
                                        ;     Child Loop BB19_18 Depth 2
                                        ;       Child Loop BB19_20 Depth 3
	v_ashrrev_i32_e32 v10, 31, v9
	s_mov_b32 s14, exec_lo
	s_delay_alu instid0(VALU_DEP_1) | instskip(SKIP_1) | instid1(VALU_DEP_2)
	v_lshlrev_b64_e32 v[11:12], 2, v[9:10]
	v_lshlrev_b64_e32 v[13:14], 3, v[9:10]
	v_add_co_u32 v11, vcc_lo, s6, v11
	s_wait_alu 0xfffd
	s_delay_alu instid0(VALU_DEP_3) | instskip(NEXT) | instid1(VALU_DEP_3)
	v_add_co_ci_u32_e64 v12, null, s7, v12, vcc_lo
	v_add_co_u32 v13, vcc_lo, s8, v13
	s_wait_alu 0xfffd
	v_add_co_ci_u32_e64 v14, null, s9, v14, vcc_lo
	global_load_b32 v11, v[11:12], off
	s_wait_loadcnt 0x0
	v_subrev_nc_u32_e32 v11, s28, v11
	s_delay_alu instid0(VALU_DEP_1) | instskip(NEXT) | instid1(VALU_DEP_1)
	v_ashrrev_i32_e32 v12, 31, v11
	v_lshlrev_b64_e32 v[10:11], 2, v[11:12]
	s_delay_alu instid0(VALU_DEP_1) | instskip(SKIP_1) | instid1(VALU_DEP_2)
	v_add_co_u32 v20, vcc_lo, s4, v10
	s_wait_alu 0xfffd
	v_add_co_ci_u32_e64 v21, null, s5, v11, vcc_lo
	v_add_co_u32 v22, vcc_lo, s10, v10
	s_wait_alu 0xfffd
	v_add_co_ci_u32_e64 v23, null, s11, v11, vcc_lo
	v_add_co_u32 v15, vcc_lo, s12, v10
	s_wait_alu 0xfffd
	v_add_co_ci_u32_e64 v16, null, s13, v11, vcc_lo
	global_load_b64 v[10:11], v[13:14], off
	global_load_b32 v17, v[20:21], off offset:4
	global_load_b32 v12, v[22:23], off
	global_load_b32 v20, v[15:16], off scope:SCOPE_DEV
	s_wait_loadcnt 0x0
	v_cmpx_eq_u32_e32 0, v20
	s_cbranch_execz .LBB19_14
; %bb.12:                               ;   in Loop: Header=BB19_11 Depth=1
	s_mov_b32 s15, 0
.LBB19_13:                              ;   Parent Loop BB19_11 Depth=1
                                        ; =>  This Inner Loop Header: Depth=2
	global_load_b32 v20, v[15:16], off scope:SCOPE_DEV
	s_wait_loadcnt 0x0
	v_cmp_ne_u32_e32 vcc_lo, 0, v20
	s_or_b32 s15, vcc_lo, s15
	s_delay_alu instid0(SALU_CYCLE_1)
	s_and_not1_b32 exec_lo, exec_lo, s15
	s_cbranch_execnz .LBB19_13
.LBB19_14:                              ;   in Loop: Header=BB19_11 Depth=1
	s_or_b32 exec_lo, exec_lo, s14
	v_subrev_nc_u32_e32 v20, s28, v17
	v_cmp_eq_u32_e32 vcc_lo, -1, v12
	s_wait_dscnt 0x0
	global_inv scope:SCOPE_DEV
	s_mov_b32 s15, -1
	s_mov_b32 s14, exec_lo
	v_add_nc_u32_e32 v15, -1, v20
	s_wait_alu 0xfffd
	s_delay_alu instid0(VALU_DEP_1) | instskip(NEXT) | instid1(VALU_DEP_1)
	v_cndmask_b32_e32 v15, v12, v15, vcc_lo
	v_ashrrev_i32_e32 v16, 31, v15
	s_delay_alu instid0(VALU_DEP_1) | instskip(NEXT) | instid1(VALU_DEP_1)
	v_lshlrev_b64_e32 v[16:17], 3, v[15:16]
	v_add_co_u32 v16, vcc_lo, s8, v16
	s_wait_alu 0xfffd
	s_delay_alu instid0(VALU_DEP_2)
	v_add_co_ci_u32_e64 v17, null, s9, v17, vcc_lo
	global_load_b64 v[16:17], v[16:17], off
	s_wait_loadcnt 0x0
	v_cmpx_neq_f64_e32 0, v[16:17]
	s_xor_b32 s14, exec_lo, s14
	s_cbranch_execz .LBB19_10
; %bb.15:                               ;   in Loop: Header=BB19_11 Depth=1
	v_div_scale_f64 v[21:22], null, v[16:17], v[16:17], v[10:11]
	v_add_nc_u32_e32 v12, v18, v15
	v_add_nc_u32_e32 v9, 1, v9
	s_mov_b32 s15, exec_lo
	s_delay_alu instid0(VALU_DEP_3) | instskip(NEXT) | instid1(TRANS32_DEP_1)
	v_rcp_f64_e32 v[23:24], v[21:22]
	v_fma_f64 v[25:26], -v[21:22], v[23:24], 1.0
	s_delay_alu instid0(VALU_DEP_1) | instskip(NEXT) | instid1(VALU_DEP_1)
	v_fma_f64 v[23:24], v[23:24], v[25:26], v[23:24]
	v_fma_f64 v[25:26], -v[21:22], v[23:24], 1.0
	s_delay_alu instid0(VALU_DEP_1) | instskip(SKIP_1) | instid1(VALU_DEP_1)
	v_fma_f64 v[23:24], v[23:24], v[25:26], v[23:24]
	v_div_scale_f64 v[25:26], vcc_lo, v[10:11], v[16:17], v[10:11]
	v_mul_f64_e32 v[27:28], v[25:26], v[23:24]
	s_delay_alu instid0(VALU_DEP_1) | instskip(SKIP_1) | instid1(VALU_DEP_1)
	v_fma_f64 v[21:22], -v[21:22], v[27:28], v[25:26]
	s_wait_alu 0xfffd
	v_div_fmas_f64 v[21:22], v[21:22], v[23:24], v[27:28]
	s_delay_alu instid0(VALU_DEP_1)
	v_div_fixup_f64 v[10:11], v[21:22], v[16:17], v[10:11]
	global_store_b64 v[13:14], v[10:11], off
	v_cmpx_lt_i32_e64 v12, v20
	s_cbranch_execz .LBB19_9
; %bb.16:                               ;   in Loop: Header=BB19_11 Depth=1
	v_mov_b32_e32 v14, v9
	s_mov_b32 s22, 0
	s_branch .LBB19_18
.LBB19_17:                              ;   in Loop: Header=BB19_18 Depth=2
	s_or_b32 exec_lo, exec_lo, s23
	v_add_nc_u32_e32 v12, 32, v12
	s_delay_alu instid0(VALU_DEP_1) | instskip(SKIP_1) | instid1(SALU_CYCLE_1)
	v_cmp_ge_i32_e32 vcc_lo, v12, v20
	s_or_b32 s22, vcc_lo, s22
	s_and_not1_b32 exec_lo, exec_lo, s22
	s_cbranch_execz .LBB19_9
.LBB19_18:                              ;   Parent Loop BB19_11 Depth=1
                                        ; =>  This Loop Header: Depth=2
                                        ;       Child Loop BB19_20 Depth 3
	s_delay_alu instid0(VALU_DEP_1) | instskip(SKIP_1) | instid1(VALU_DEP_1)
	v_add_nc_u32_e32 v13, v14, v19
	s_mov_b32 s23, exec_lo
	v_ashrrev_i32_e32 v15, 1, v13
	v_ashrrev_i32_e32 v13, 31, v12
	s_delay_alu instid0(VALU_DEP_2) | instskip(NEXT) | instid1(VALU_DEP_2)
	v_ashrrev_i32_e32 v16, 31, v15
	v_lshlrev_b64_e32 v[21:22], 2, v[12:13]
	s_delay_alu instid0(VALU_DEP_2) | instskip(NEXT) | instid1(VALU_DEP_2)
	v_lshlrev_b64_e32 v[16:17], 2, v[15:16]
	v_add_co_u32 v21, vcc_lo, s6, v21
	s_wait_alu 0xfffd
	s_delay_alu instid0(VALU_DEP_3) | instskip(NEXT) | instid1(VALU_DEP_3)
	v_add_co_ci_u32_e64 v22, null, s7, v22, vcc_lo
	v_add_co_u32 v23, vcc_lo, s6, v16
	s_wait_alu 0xfffd
	v_add_co_ci_u32_e64 v24, null, s7, v17, vcc_lo
	s_clause 0x1
	global_load_b32 v17, v[21:22], off
	global_load_b32 v16, v[23:24], off
	v_cmpx_lt_i32_e64 v14, v19
	s_cbranch_execz .LBB19_22
; %bb.19:                               ;   in Loop: Header=BB19_18 Depth=2
	v_mov_b32_e32 v21, v19
	s_mov_b32 s24, 0
.LBB19_20:                              ;   Parent Loop BB19_11 Depth=1
                                        ;     Parent Loop BB19_18 Depth=2
                                        ; =>    This Inner Loop Header: Depth=3
	s_wait_loadcnt 0x0
	v_cmp_lt_i32_e32 vcc_lo, v16, v17
	s_wait_alu 0xfffd
	v_dual_cndmask_b32 v21, v15, v21 :: v_dual_add_nc_u32 v22, 1, v15
	s_delay_alu instid0(VALU_DEP_1) | instskip(NEXT) | instid1(VALU_DEP_1)
	v_cndmask_b32_e32 v14, v14, v22, vcc_lo
	v_add_nc_u32_e32 v15, v21, v14
	s_delay_alu instid0(VALU_DEP_1) | instskip(NEXT) | instid1(VALU_DEP_1)
	v_ashrrev_i32_e32 v15, 1, v15
	v_ashrrev_i32_e32 v16, 31, v15
	s_delay_alu instid0(VALU_DEP_1) | instskip(NEXT) | instid1(VALU_DEP_1)
	v_lshlrev_b64_e32 v[22:23], 2, v[15:16]
	v_add_co_u32 v22, vcc_lo, s6, v22
	s_wait_alu 0xfffd
	s_delay_alu instid0(VALU_DEP_2)
	v_add_co_ci_u32_e64 v23, null, s7, v23, vcc_lo
	v_cmp_ge_i32_e32 vcc_lo, v14, v21
	global_load_b32 v16, v[22:23], off
	s_wait_alu 0xfffe
	s_or_b32 s24, vcc_lo, s24
	s_wait_alu 0xfffe
	s_and_not1_b32 exec_lo, exec_lo, s24
	s_cbranch_execnz .LBB19_20
; %bb.21:                               ;   in Loop: Header=BB19_18 Depth=2
	s_or_b32 exec_lo, exec_lo, s24
.LBB19_22:                              ;   in Loop: Header=BB19_18 Depth=2
	s_delay_alu instid0(SALU_CYCLE_1) | instskip(NEXT) | instid1(SALU_CYCLE_1)
	s_or_b32 exec_lo, exec_lo, s23
	s_mov_b32 s23, exec_lo
	s_wait_loadcnt 0x0
	v_cmpx_eq_u32_e64 v16, v17
	s_cbranch_execz .LBB19_17
; %bb.23:                               ;   in Loop: Header=BB19_18 Depth=2
	v_ashrrev_i32_e32 v15, 31, v14
	v_lshlrev_b64_e32 v[16:17], 3, v[12:13]
	s_delay_alu instid0(VALU_DEP_2) | instskip(NEXT) | instid1(VALU_DEP_2)
	v_lshlrev_b64_e32 v[21:22], 3, v[14:15]
	v_add_co_u32 v15, vcc_lo, s8, v16
	s_wait_alu 0xfffd
	s_delay_alu instid0(VALU_DEP_3) | instskip(NEXT) | instid1(VALU_DEP_3)
	v_add_co_ci_u32_e64 v16, null, s9, v17, vcc_lo
	v_add_co_u32 v21, vcc_lo, s8, v21
	s_wait_alu 0xfffd
	v_add_co_ci_u32_e64 v22, null, s9, v22, vcc_lo
	s_clause 0x1
	global_load_b64 v[15:16], v[15:16], off
	global_load_b64 v[23:24], v[21:22], off
	s_wait_loadcnt 0x0
	v_fma_f64 v[15:16], -v[10:11], v[15:16], v[23:24]
	global_store_b64 v[21:22], v[15:16], off
	s_branch .LBB19_17
.LBB19_24:
	s_wait_alu 0xfffe
	s_or_b32 exec_lo, exec_lo, s2
	s_mov_b32 s4, -1
	s_mov_b32 s3, exec_lo
	s_wait_storecnt_dscnt 0x0
	global_inv scope:SCOPE_SE
	v_cmpx_lt_i32_e32 -1, v8
	s_cbranch_execz .LBB19_40
; %bb.25:
	v_mov_b32_e32 v9, 0
	v_cmp_eq_u32_e64 s2, 0, v0
	s_delay_alu instid0(VALU_DEP_2) | instskip(NEXT) | instid1(VALU_DEP_1)
	v_lshlrev_b64_e32 v[8:9], 3, v[8:9]
	v_add_co_u32 v10, vcc_lo, s8, v8
	s_wait_alu 0xfffd
	s_delay_alu instid0(VALU_DEP_2)
	v_add_co_ci_u32_e64 v11, null, s9, v9, vcc_lo
	global_load_b64 v[8:9], v[10:11], off
	s_wait_loadcnt 0x0
	v_cmp_gt_f64_e32 vcc_lo, 0, v[8:9]
	v_xor_b32_e32 v13, 0x80000000, v9
	s_wait_alu 0xfffd
	s_delay_alu instid0(VALU_DEP_1)
	v_dual_mov_b32 v12, v8 :: v_dual_cndmask_b32 v13, v9, v13
	s_and_not1_b32 vcc_lo, exec_lo, s29
	s_wait_alu 0xfffe
	s_cbranch_vccnz .LBB19_29
; %bb.26:
	v_cvt_f64_f32_e32 v[14:15], s30
	s_cmp_eq_u64 s[20:21], 8
	s_cselect_b32 vcc_lo, -1, 0
	s_wait_alu 0xfffe
	s_delay_alu instid0(VALU_DEP_1) | instskip(NEXT) | instid1(VALU_DEP_1)
	v_dual_cndmask_b32 v4, v15, v4 :: v_dual_cndmask_b32 v3, v14, v3
	v_cmp_le_f64_e32 vcc_lo, v[12:13], v[3:4]
	s_and_b32 s5, s2, vcc_lo
	s_wait_alu 0xfffe
	s_and_saveexec_b32 s4, s5
	s_cbranch_execz .LBB19_28
; %bb.27:
	global_store_b64 v[10:11], v[5:6], off
.LBB19_28:
	s_wait_alu 0xfffe
	s_or_b32 exec_lo, exec_lo, s4
	s_mov_b32 s4, 0
.LBB19_29:
	s_wait_alu 0xfffe
	s_and_not1_b32 vcc_lo, exec_lo, s4
	s_wait_alu 0xfffe
	s_cbranch_vccnz .LBB19_40
; %bb.30:
	s_load_b64 s[0:1], s[0:1], 0x48
	v_add_nc_u32_e32 v3, s28, v7
	s_wait_kmcnt 0x0
	v_cmp_ge_f64_e32 vcc_lo, s[0:1], v[12:13]
	s_and_b32 s1, s2, vcc_lo
	s_wait_alu 0xfffe
	s_and_saveexec_b32 s0, s1
	s_cbranch_execz .LBB19_35
; %bb.31:
	s_mov_b32 s4, exec_lo
	s_brev_b32 s1, -2
.LBB19_32:                              ; =>This Inner Loop Header: Depth=1
	s_wait_alu 0xfffe
	s_ctz_i32_b32 s5, s4
	s_wait_alu 0xfffe
	v_readlane_b32 s6, v3, s5
	s_lshl_b32 s5, 1, s5
	s_wait_alu 0xfffe
	s_and_not1_b32 s4, s4, s5
	s_min_i32 s1, s1, s6
	s_wait_alu 0xfffe
	s_cmp_lg_u32 s4, 0
	s_cbranch_scc1 .LBB19_32
; %bb.33:
	v_mbcnt_lo_u32_b32 v4, exec_lo, 0
	s_mov_b32 s4, exec_lo
	s_delay_alu instid0(VALU_DEP_1)
	v_cmpx_eq_u32_e32 0, v4
	s_wait_alu 0xfffe
	s_xor_b32 s4, exec_lo, s4
	s_cbranch_execz .LBB19_35
; %bb.34:
	v_dual_mov_b32 v4, 0 :: v_dual_mov_b32 v5, s1
	global_atomic_min_i32 v4, v5, s[18:19] scope:SCOPE_DEV
.LBB19_35:
	s_wait_alu 0xfffe
	s_or_b32 exec_lo, exec_lo, s0
	v_cmp_eq_f64_e32 vcc_lo, 0, v[8:9]
	s_and_b32 s0, s2, vcc_lo
	s_wait_alu 0xfffe
	s_and_b32 exec_lo, exec_lo, s0
	s_cbranch_execz .LBB19_40
; %bb.36:
	s_mov_b32 s1, exec_lo
	s_brev_b32 s0, -2
.LBB19_37:                              ; =>This Inner Loop Header: Depth=1
	s_wait_alu 0xfffe
	s_ctz_i32_b32 s2, s1
	s_wait_alu 0xfffe
	v_readlane_b32 s4, v3, s2
	s_lshl_b32 s2, 1, s2
	s_wait_alu 0xfffe
	s_and_not1_b32 s1, s1, s2
	s_min_i32 s0, s0, s4
	s_wait_alu 0xfffe
	s_cmp_lg_u32 s1, 0
	s_cbranch_scc1 .LBB19_37
; %bb.38:
	v_mbcnt_lo_u32_b32 v3, exec_lo, 0
	s_mov_b32 s1, exec_lo
	s_delay_alu instid0(VALU_DEP_1)
	v_cmpx_eq_u32_e32 0, v3
	s_wait_alu 0xfffe
	s_xor_b32 s1, exec_lo, s1
	s_cbranch_execz .LBB19_40
; %bb.39:
	v_dual_mov_b32 v3, 0 :: v_dual_mov_b32 v4, s0
	global_atomic_min_i32 v3, v4, s[16:17] scope:SCOPE_DEV
.LBB19_40:
	s_wait_alu 0xfffe
	s_or_b32 exec_lo, exec_lo, s3
	v_cmp_eq_u32_e32 vcc_lo, 0, v0
	s_wait_loadcnt 0x0
	s_wait_storecnt 0x0
	global_inv scope:SCOPE_DEV
	s_and_b32 exec_lo, exec_lo, vcc_lo
	s_cbranch_execz .LBB19_42
; %bb.41:
	v_add_co_u32 v0, vcc_lo, s12, v1
	s_wait_alu 0xfffd
	v_add_co_ci_u32_e64 v1, null, s13, v2, vcc_lo
	v_mov_b32_e32 v2, 1
	s_wait_loadcnt 0x0
	global_store_b32 v[0:1], v2, off scope:SCOPE_DEV
.LBB19_42:
	s_endpgm
	.section	.rodata,"a",@progbits
	.p2align	6, 0x0
	.amdhsa_kernel _ZN9rocsparseL17csrilu0_binsearchILj256ELj32ELb0EdEEviPKiS2_PT2_S2_PiS2_S5_S5_d21rocsparse_index_base_imNS_24const_host_device_scalarIfEENS7_IdEENS7_IS3_EEb
		.amdhsa_group_segment_fixed_size 0
		.amdhsa_private_segment_fixed_size 0
		.amdhsa_kernarg_size 124
		.amdhsa_user_sgpr_count 2
		.amdhsa_user_sgpr_dispatch_ptr 0
		.amdhsa_user_sgpr_queue_ptr 0
		.amdhsa_user_sgpr_kernarg_segment_ptr 1
		.amdhsa_user_sgpr_dispatch_id 0
		.amdhsa_user_sgpr_private_segment_size 0
		.amdhsa_wavefront_size32 1
		.amdhsa_uses_dynamic_stack 0
		.amdhsa_enable_private_segment 0
		.amdhsa_system_sgpr_workgroup_id_x 1
		.amdhsa_system_sgpr_workgroup_id_y 0
		.amdhsa_system_sgpr_workgroup_id_z 0
		.amdhsa_system_sgpr_workgroup_info 0
		.amdhsa_system_vgpr_workitem_id 0
		.amdhsa_next_free_vgpr 29
		.amdhsa_next_free_sgpr 31
		.amdhsa_reserve_vcc 1
		.amdhsa_float_round_mode_32 0
		.amdhsa_float_round_mode_16_64 0
		.amdhsa_float_denorm_mode_32 3
		.amdhsa_float_denorm_mode_16_64 3
		.amdhsa_fp16_overflow 0
		.amdhsa_workgroup_processor_mode 1
		.amdhsa_memory_ordered 1
		.amdhsa_forward_progress 1
		.amdhsa_inst_pref_size 16
		.amdhsa_round_robin_scheduling 0
		.amdhsa_exception_fp_ieee_invalid_op 0
		.amdhsa_exception_fp_denorm_src 0
		.amdhsa_exception_fp_ieee_div_zero 0
		.amdhsa_exception_fp_ieee_overflow 0
		.amdhsa_exception_fp_ieee_underflow 0
		.amdhsa_exception_fp_ieee_inexact 0
		.amdhsa_exception_int_div_zero 0
	.end_amdhsa_kernel
	.section	.text._ZN9rocsparseL17csrilu0_binsearchILj256ELj32ELb0EdEEviPKiS2_PT2_S2_PiS2_S5_S5_d21rocsparse_index_base_imNS_24const_host_device_scalarIfEENS7_IdEENS7_IS3_EEb,"axG",@progbits,_ZN9rocsparseL17csrilu0_binsearchILj256ELj32ELb0EdEEviPKiS2_PT2_S2_PiS2_S5_S5_d21rocsparse_index_base_imNS_24const_host_device_scalarIfEENS7_IdEENS7_IS3_EEb,comdat
.Lfunc_end19:
	.size	_ZN9rocsparseL17csrilu0_binsearchILj256ELj32ELb0EdEEviPKiS2_PT2_S2_PiS2_S5_S5_d21rocsparse_index_base_imNS_24const_host_device_scalarIfEENS7_IdEENS7_IS3_EEb, .Lfunc_end19-_ZN9rocsparseL17csrilu0_binsearchILj256ELj32ELb0EdEEviPKiS2_PT2_S2_PiS2_S5_S5_d21rocsparse_index_base_imNS_24const_host_device_scalarIfEENS7_IdEENS7_IS3_EEb
                                        ; -- End function
	.set _ZN9rocsparseL17csrilu0_binsearchILj256ELj32ELb0EdEEviPKiS2_PT2_S2_PiS2_S5_S5_d21rocsparse_index_base_imNS_24const_host_device_scalarIfEENS7_IdEENS7_IS3_EEb.num_vgpr, 29
	.set _ZN9rocsparseL17csrilu0_binsearchILj256ELj32ELb0EdEEviPKiS2_PT2_S2_PiS2_S5_S5_d21rocsparse_index_base_imNS_24const_host_device_scalarIfEENS7_IdEENS7_IS3_EEb.num_agpr, 0
	.set _ZN9rocsparseL17csrilu0_binsearchILj256ELj32ELb0EdEEviPKiS2_PT2_S2_PiS2_S5_S5_d21rocsparse_index_base_imNS_24const_host_device_scalarIfEENS7_IdEENS7_IS3_EEb.numbered_sgpr, 31
	.set _ZN9rocsparseL17csrilu0_binsearchILj256ELj32ELb0EdEEviPKiS2_PT2_S2_PiS2_S5_S5_d21rocsparse_index_base_imNS_24const_host_device_scalarIfEENS7_IdEENS7_IS3_EEb.num_named_barrier, 0
	.set _ZN9rocsparseL17csrilu0_binsearchILj256ELj32ELb0EdEEviPKiS2_PT2_S2_PiS2_S5_S5_d21rocsparse_index_base_imNS_24const_host_device_scalarIfEENS7_IdEENS7_IS3_EEb.private_seg_size, 0
	.set _ZN9rocsparseL17csrilu0_binsearchILj256ELj32ELb0EdEEviPKiS2_PT2_S2_PiS2_S5_S5_d21rocsparse_index_base_imNS_24const_host_device_scalarIfEENS7_IdEENS7_IS3_EEb.uses_vcc, 1
	.set _ZN9rocsparseL17csrilu0_binsearchILj256ELj32ELb0EdEEviPKiS2_PT2_S2_PiS2_S5_S5_d21rocsparse_index_base_imNS_24const_host_device_scalarIfEENS7_IdEENS7_IS3_EEb.uses_flat_scratch, 0
	.set _ZN9rocsparseL17csrilu0_binsearchILj256ELj32ELb0EdEEviPKiS2_PT2_S2_PiS2_S5_S5_d21rocsparse_index_base_imNS_24const_host_device_scalarIfEENS7_IdEENS7_IS3_EEb.has_dyn_sized_stack, 0
	.set _ZN9rocsparseL17csrilu0_binsearchILj256ELj32ELb0EdEEviPKiS2_PT2_S2_PiS2_S5_S5_d21rocsparse_index_base_imNS_24const_host_device_scalarIfEENS7_IdEENS7_IS3_EEb.has_recursion, 0
	.set _ZN9rocsparseL17csrilu0_binsearchILj256ELj32ELb0EdEEviPKiS2_PT2_S2_PiS2_S5_S5_d21rocsparse_index_base_imNS_24const_host_device_scalarIfEENS7_IdEENS7_IS3_EEb.has_indirect_call, 0
	.section	.AMDGPU.csdata,"",@progbits
; Kernel info:
; codeLenInByte = 2016
; TotalNumSgprs: 33
; NumVgprs: 29
; ScratchSize: 0
; MemoryBound: 0
; FloatMode: 240
; IeeeMode: 1
; LDSByteSize: 0 bytes/workgroup (compile time only)
; SGPRBlocks: 0
; VGPRBlocks: 3
; NumSGPRsForWavesPerEU: 33
; NumVGPRsForWavesPerEU: 29
; Occupancy: 16
; WaveLimiterHint : 1
; COMPUTE_PGM_RSRC2:SCRATCH_EN: 0
; COMPUTE_PGM_RSRC2:USER_SGPR: 2
; COMPUTE_PGM_RSRC2:TRAP_HANDLER: 0
; COMPUTE_PGM_RSRC2:TGID_X_EN: 1
; COMPUTE_PGM_RSRC2:TGID_Y_EN: 0
; COMPUTE_PGM_RSRC2:TGID_Z_EN: 0
; COMPUTE_PGM_RSRC2:TIDIG_COMP_CNT: 0
	.section	.text._ZN9rocsparseL12csrilu0_hashILj256ELj64ELj1EdEEviPKiS2_PT2_S2_PiS2_S5_S5_d21rocsparse_index_base_imNS_24const_host_device_scalarIfEENS7_IdEENS7_IS3_EEb,"axG",@progbits,_ZN9rocsparseL12csrilu0_hashILj256ELj64ELj1EdEEviPKiS2_PT2_S2_PiS2_S5_S5_d21rocsparse_index_base_imNS_24const_host_device_scalarIfEENS7_IdEENS7_IS3_EEb,comdat
	.globl	_ZN9rocsparseL12csrilu0_hashILj256ELj64ELj1EdEEviPKiS2_PT2_S2_PiS2_S5_S5_d21rocsparse_index_base_imNS_24const_host_device_scalarIfEENS7_IdEENS7_IS3_EEb ; -- Begin function _ZN9rocsparseL12csrilu0_hashILj256ELj64ELj1EdEEviPKiS2_PT2_S2_PiS2_S5_S5_d21rocsparse_index_base_imNS_24const_host_device_scalarIfEENS7_IdEENS7_IS3_EEb
	.p2align	8
	.type	_ZN9rocsparseL12csrilu0_hashILj256ELj64ELj1EdEEviPKiS2_PT2_S2_PiS2_S5_S5_d21rocsparse_index_base_imNS_24const_host_device_scalarIfEENS7_IdEENS7_IS3_EEb,@function
_ZN9rocsparseL12csrilu0_hashILj256ELj64ELj1EdEEviPKiS2_PT2_S2_PiS2_S5_S5_d21rocsparse_index_base_imNS_24const_host_device_scalarIfEENS7_IdEENS7_IS3_EEb: ; @_ZN9rocsparseL12csrilu0_hashILj256ELj64ELj1EdEEviPKiS2_PT2_S2_PiS2_S5_S5_d21rocsparse_index_base_imNS_24const_host_device_scalarIfEENS7_IdEENS7_IS3_EEb
; %bb.0:
	s_clause 0x2
	s_load_b32 s2, s[0:1], 0x78
	s_load_b64 s[28:29], s[0:1], 0x50
	s_load_b256 s[20:27], s[0:1], 0x58
	s_wait_kmcnt 0x0
	s_bitcmp1_b32 s2, 0
	s_cselect_b32 s2, -1, 0
	s_cmp_eq_u32 s29, 0
	s_cselect_b32 s4, -1, 0
	s_cmp_lg_u32 s29, 0
	s_cselect_b32 s29, -1, 0
	s_or_b32 s6, s4, s2
	s_delay_alu instid0(SALU_CYCLE_1)
	s_xor_b32 s5, s6, -1
	s_and_b32 s2, s4, exec_lo
	s_cselect_b32 s3, 0, s25
	s_cselect_b32 s2, 0, s24
	;; [unrolled: 1-line block ×3, first 2 shown]
	s_and_b32 vcc_lo, exec_lo, s6
	s_cbranch_vccnz .LBB20_2
; %bb.1:
	s_load_b32 s30, s[22:23], 0x0
	s_mov_b64 s[2:3], s[24:25]
.LBB20_2:
	v_cndmask_b32_e64 v1, 0, 1, s5
	v_dual_mov_b32 v2, s2 :: v_dual_mov_b32 v3, s3
	s_and_not1_b32 vcc_lo, exec_lo, s5
	s_cbranch_vccnz .LBB20_4
; %bb.3:
	v_dual_mov_b32 v2, s24 :: v_dual_mov_b32 v3, s25
	flat_load_b64 v[2:3], v[2:3]
.LBB20_4:
	s_and_b32 s2, s4, exec_lo
	s_cselect_b32 s3, 0, s27
	v_cmp_ne_u32_e32 vcc_lo, 1, v1
	s_cselect_b32 s2, 0, s26
	s_wait_alu 0xfffe
	v_dual_mov_b32 v5, s3 :: v_dual_mov_b32 v4, s2
	s_cbranch_vccnz .LBB20_6
; %bb.5:
	v_dual_mov_b32 v4, s26 :: v_dual_mov_b32 v5, s27
	flat_load_b64 v[4:5], v[4:5]
.LBB20_6:
	s_load_b32 s2, s[0:1], 0x0
	v_and_b32_e32 v10, 0xc0, v0
	v_lshrrev_b32_e32 v1, 6, v0
	s_lshl_b32 s3, ttmp9, 2
	v_dual_mov_b32 v6, -1 :: v_dual_and_b32 v17, 63, v0
	s_delay_alu instid0(VALU_DEP_3) | instskip(SKIP_2) | instid1(VALU_DEP_2)
	v_lshl_or_b32 v18, v10, 2, 0x400
	s_wait_alu 0xfffe
	v_and_or_b32 v0, 0x3fffffc, s3, v1
	v_lshl_or_b32 v1, v17, 2, v18
	ds_store_b32 v1, v6
	s_wait_loadcnt_dscnt 0x0
	global_inv scope:SCOPE_SE
	s_wait_kmcnt 0x0
	v_cmp_gt_i32_e32 vcc_lo, s2, v0
	s_and_saveexec_b32 s2, vcc_lo
	s_cbranch_execz .LBB20_78
; %bb.7:
	s_load_b512 s[4:19], s[0:1], 0x8
	v_lshlrev_b32_e32 v0, 2, v0
	v_lshlrev_b32_e32 v19, 2, v10
	s_mov_b32 s2, exec_lo
	s_wait_kmcnt 0x0
	global_load_b32 v6, v0, s[14:15]
	s_wait_loadcnt 0x0
	v_ashrrev_i32_e32 v7, 31, v6
	s_delay_alu instid0(VALU_DEP_1) | instskip(NEXT) | instid1(VALU_DEP_1)
	v_lshlrev_b64_e32 v[0:1], 2, v[6:7]
	v_add_co_u32 v7, vcc_lo, s4, v0
	s_delay_alu instid0(VALU_DEP_1)
	v_add_co_ci_u32_e64 v8, null, s5, v1, vcc_lo
	v_add_co_u32 v11, vcc_lo, s10, v0
	s_wait_alu 0xfffd
	v_add_co_ci_u32_e64 v12, null, s11, v1, vcc_lo
	global_load_b64 v[8:9], v[7:8], off
	global_load_b32 v7, v[11:12], off
	s_wait_loadcnt 0x1
	v_subrev_nc_u32_e32 v8, s28, v8
	v_subrev_nc_u32_e32 v11, s28, v9
	s_delay_alu instid0(VALU_DEP_2) | instskip(NEXT) | instid1(VALU_DEP_1)
	v_add_nc_u32_e32 v9, v8, v17
	v_cmpx_lt_i32_e64 v9, v11
	s_cbranch_execz .LBB20_30
; %bb.8:
	v_mov_b32_e32 v12, -1
	s_mov_b32 s3, 0
	s_branch .LBB20_10
.LBB20_9:                               ;   in Loop: Header=BB20_10 Depth=1
	s_or_b32 exec_lo, exec_lo, s14
	v_add_nc_u32_e32 v9, 64, v9
	s_delay_alu instid0(VALU_DEP_1)
	v_cmp_ge_i32_e32 vcc_lo, v9, v11
	s_or_b32 s3, vcc_lo, s3
	s_wait_alu 0xfffe
	s_and_not1_b32 exec_lo, exec_lo, s3
	s_cbranch_execz .LBB20_30
.LBB20_10:                              ; =>This Loop Header: Depth=1
                                        ;     Child Loop BB20_19 Depth 2
	v_ashrrev_i32_e32 v10, 31, v9
	s_mov_b32 s14, 0
                                        ; implicit-def: $sgpr15
                                        ; implicit-def: $sgpr22
                                        ; implicit-def: $sgpr23
	s_delay_alu instid0(VALU_DEP_1) | instskip(NEXT) | instid1(VALU_DEP_1)
	v_lshlrev_b64_e32 v[13:14], 2, v[9:10]
	v_add_co_u32 v13, vcc_lo, s6, v13
	s_wait_alu 0xfffd
	s_delay_alu instid0(VALU_DEP_2)
	v_add_co_ci_u32_e64 v14, null, s7, v14, vcc_lo
	global_load_b32 v10, v[13:14], off
	v_mov_b32_e32 v13, 64
	s_wait_loadcnt 0x0
	v_mul_lo_u32 v15, v10, 39
	s_branch .LBB20_19
.LBB20_11:                              ;   in Loop: Header=BB20_19 Depth=2
	s_or_b32 exec_lo, exec_lo, s37
	s_delay_alu instid0(SALU_CYCLE_1)
	s_or_not1_b32 s35, s35, exec_lo
	s_or_not1_b32 s36, s36, exec_lo
.LBB20_12:                              ;   in Loop: Header=BB20_19 Depth=2
	s_or_b32 exec_lo, exec_lo, s34
	s_delay_alu instid0(SALU_CYCLE_1)
	s_and_b32 s35, s35, exec_lo
	s_or_not1_b32 s34, s36, exec_lo
.LBB20_13:                              ;   in Loop: Header=BB20_19 Depth=2
	s_or_b32 exec_lo, exec_lo, s33
	s_delay_alu instid0(SALU_CYCLE_1)
	s_or_not1_b32 s33, s35, exec_lo
	s_or_not1_b32 s34, s34, exec_lo
.LBB20_14:                              ;   in Loop: Header=BB20_19 Depth=2
	s_or_b32 exec_lo, exec_lo, s31
	s_delay_alu instid0(SALU_CYCLE_1)
	s_and_b32 s33, s33, exec_lo
	s_or_not1_b32 s31, s34, exec_lo
.LBB20_15:                              ;   in Loop: Header=BB20_19 Depth=2
	s_wait_alu 0xfffe
	s_or_b32 exec_lo, exec_lo, s27
	s_delay_alu instid0(SALU_CYCLE_1)
	s_or_not1_b32 s27, s33, exec_lo
	s_or_not1_b32 s31, s31, exec_lo
.LBB20_16:                              ;   in Loop: Header=BB20_19 Depth=2
	s_wait_alu 0xfffe
	s_or_b32 exec_lo, exec_lo, s26
	s_delay_alu instid0(SALU_CYCLE_1)
	s_and_b32 s27, s27, exec_lo
	s_or_not1_b32 s26, s31, exec_lo
.LBB20_17:                              ;   in Loop: Header=BB20_19 Depth=2
	s_wait_alu 0xfffe
	s_or_b32 exec_lo, exec_lo, s25
	s_delay_alu instid0(SALU_CYCLE_1)
	s_and_not1_b32 s23, s23, exec_lo
	s_and_b32 s25, s27, exec_lo
	s_and_not1_b32 s22, s22, exec_lo
	s_and_b32 s26, s26, exec_lo
	s_wait_alu 0xfffe
	s_or_b32 s23, s23, s25
	s_or_b32 s22, s22, s26
.LBB20_18:                              ;   in Loop: Header=BB20_19 Depth=2
	s_wait_alu 0xfffe
	s_or_b32 exec_lo, exec_lo, s24
	s_delay_alu instid0(SALU_CYCLE_1)
	s_and_b32 s24, exec_lo, s22
	s_wait_alu 0xfffe
	s_or_b32 s14, s24, s14
	s_and_not1_b32 s15, s15, exec_lo
	s_and_b32 s24, s23, exec_lo
	s_wait_alu 0xfffe
	s_or_b32 s15, s15, s24
	s_and_not1_b32 exec_lo, exec_lo, s14
	s_cbranch_execz .LBB20_28
.LBB20_19:                              ;   Parent Loop BB20_10 Depth=1
                                        ; =>  This Inner Loop Header: Depth=2
	s_delay_alu instid0(VALU_DEP_1) | instskip(SKIP_3) | instid1(VALU_DEP_1)
	v_and_b32_e32 v14, 63, v15
	s_or_b32 s23, s23, exec_lo
	s_or_b32 s22, s22, exec_lo
	s_mov_b32 s24, exec_lo
	v_lshl_add_u32 v16, v14, 2, v18
	ds_load_b32 v20, v16
	s_wait_dscnt 0x0
	v_cmpx_ne_u32_e64 v20, v10
	s_cbranch_execz .LBB20_18
; %bb.20:                               ;   in Loop: Header=BB20_19 Depth=2
	ds_cmpstore_rtn_b32 v16, v16, v10, v12
	s_mov_b32 s26, -1
	s_mov_b32 s27, 0
	s_mov_b32 s25, exec_lo
	s_wait_dscnt 0x0
	v_cmpx_ne_u32_e32 -1, v16
	s_cbranch_execz .LBB20_17
; %bb.21:                               ;   in Loop: Header=BB20_19 Depth=2
	v_add_nc_u32_e32 v14, 1, v15
	s_mov_b32 s31, -1
	s_mov_b32 s27, -1
	s_mov_b32 s26, exec_lo
	s_delay_alu instid0(VALU_DEP_1) | instskip(NEXT) | instid1(VALU_DEP_1)
	v_and_b32_e32 v14, 63, v14
	v_lshl_add_u32 v16, v14, 2, v18
	ds_load_b32 v20, v16
	s_wait_dscnt 0x0
	v_cmpx_ne_u32_e64 v20, v10
	s_cbranch_execz .LBB20_16
; %bb.22:                               ;   in Loop: Header=BB20_19 Depth=2
	ds_cmpstore_rtn_b32 v16, v16, v10, v12
	s_mov_b32 s33, 0
	s_mov_b32 s27, exec_lo
	s_wait_dscnt 0x0
	v_cmpx_ne_u32_e32 -1, v16
	s_cbranch_execz .LBB20_15
; %bb.23:                               ;   in Loop: Header=BB20_19 Depth=2
	v_add_nc_u32_e32 v14, 2, v15
	s_mov_b32 s34, -1
	s_mov_b32 s33, -1
	s_mov_b32 s31, exec_lo
	s_delay_alu instid0(VALU_DEP_1) | instskip(NEXT) | instid1(VALU_DEP_1)
	v_and_b32_e32 v14, 63, v14
	v_lshl_add_u32 v16, v14, 2, v18
	ds_load_b32 v20, v16
	s_wait_dscnt 0x0
	v_cmpx_ne_u32_e64 v20, v10
	s_cbranch_execz .LBB20_14
; %bb.24:                               ;   in Loop: Header=BB20_19 Depth=2
	ds_cmpstore_rtn_b32 v16, v16, v10, v12
	s_mov_b32 s35, 0
	s_mov_b32 s33, exec_lo
	s_wait_dscnt 0x0
	v_cmpx_ne_u32_e32 -1, v16
	s_cbranch_execz .LBB20_13
; %bb.25:                               ;   in Loop: Header=BB20_19 Depth=2
	v_add_nc_u32_e32 v14, 3, v15
	s_mov_b32 s36, -1
	s_mov_b32 s35, -1
	s_delay_alu instid0(VALU_DEP_1) | instskip(NEXT) | instid1(VALU_DEP_1)
	v_and_b32_e32 v14, 63, v14
	v_lshl_add_u32 v16, v14, 2, v18
	ds_load_b32 v15, v16
	s_wait_dscnt 0x0
	v_cmp_ne_u32_e32 vcc_lo, v15, v10
                                        ; implicit-def: $vgpr15
	s_and_saveexec_b32 s34, vcc_lo
	s_cbranch_execz .LBB20_12
; %bb.26:                               ;   in Loop: Header=BB20_19 Depth=2
	ds_cmpstore_rtn_b32 v15, v16, v10, v12
	s_mov_b32 s35, 0
	s_wait_dscnt 0x0
	v_cmp_ne_u32_e32 vcc_lo, -1, v15
                                        ; implicit-def: $vgpr15
	s_and_saveexec_b32 s37, vcc_lo
	s_cbranch_execz .LBB20_11
; %bb.27:                               ;   in Loop: Header=BB20_19 Depth=2
	v_add_nc_u32_e32 v13, -4, v13
	v_add_nc_u32_e32 v15, 1, v14
	s_mov_b32 s35, exec_lo
	s_delay_alu instid0(VALU_DEP_2)
	v_cmp_eq_u32_e32 vcc_lo, 0, v13
	s_or_not1_b32 s36, vcc_lo, exec_lo
	s_branch .LBB20_11
.LBB20_28:                              ;   in Loop: Header=BB20_10 Depth=1
	s_or_b32 exec_lo, exec_lo, s14
	s_xor_b32 s14, s15, -1
	s_delay_alu instid0(SALU_CYCLE_1) | instskip(NEXT) | instid1(SALU_CYCLE_1)
	s_and_saveexec_b32 s15, s14
	s_xor_b32 s14, exec_lo, s15
	s_cbranch_execz .LBB20_9
; %bb.29:                               ;   in Loop: Header=BB20_10 Depth=1
	v_lshl_add_u32 v10, v14, 2, v19
	ds_store_b32 v10, v9
	s_branch .LBB20_9
.LBB20_30:
	s_wait_alu 0xfffe
	s_or_b32 exec_lo, exec_lo, s2
	s_delay_alu instid0(SALU_CYCLE_1)
	s_mov_b32 s2, exec_lo
	s_wait_loadcnt_dscnt 0x0
	global_inv scope:SCOPE_SE
	v_cmpx_lt_i32_e64 v8, v7
	s_cbranch_execz .LBB20_60
; %bb.31:
	v_add_nc_u32_e32 v20, 1, v17
	s_mov_b32 s3, 0
	s_branch .LBB20_34
.LBB20_32:                              ;   in Loop: Header=BB20_34 Depth=1
	s_or_b32 exec_lo, exec_lo, s15
	v_add_nc_u32_e32 v8, 1, v8
	s_delay_alu instid0(VALU_DEP_1)
	v_cmp_ge_i32_e32 vcc_lo, v8, v7
	s_or_not1_b32 s15, vcc_lo, exec_lo
.LBB20_33:                              ;   in Loop: Header=BB20_34 Depth=1
	s_or_b32 exec_lo, exec_lo, s14
	s_delay_alu instid0(SALU_CYCLE_1)
	s_and_b32 s14, exec_lo, s15
	s_wait_alu 0xfffe
	s_or_b32 s3, s14, s3
	s_wait_alu 0xfffe
	s_and_not1_b32 exec_lo, exec_lo, s3
	s_cbranch_execz .LBB20_60
.LBB20_34:                              ; =>This Loop Header: Depth=1
                                        ;     Child Loop BB20_35 Depth 2
                                        ;     Child Loop BB20_40 Depth 2
                                        ;       Child Loop BB20_49 Depth 3
	v_ashrrev_i32_e32 v9, 31, v8
	s_mov_b32 s14, 0
	s_delay_alu instid0(VALU_DEP_1) | instskip(SKIP_1) | instid1(VALU_DEP_2)
	v_lshlrev_b64_e32 v[10:11], 2, v[8:9]
	v_lshlrev_b64_e32 v[12:13], 3, v[8:9]
	v_add_co_u32 v10, vcc_lo, s6, v10
	s_wait_alu 0xfffd
	s_delay_alu instid0(VALU_DEP_3) | instskip(NEXT) | instid1(VALU_DEP_3)
	v_add_co_ci_u32_e64 v11, null, s7, v11, vcc_lo
	v_add_co_u32 v12, vcc_lo, s8, v12
	s_wait_alu 0xfffd
	v_add_co_ci_u32_e64 v13, null, s9, v13, vcc_lo
	global_load_b32 v10, v[10:11], off
	s_wait_loadcnt 0x0
	v_subrev_nc_u32_e32 v10, s28, v10
	s_delay_alu instid0(VALU_DEP_1) | instskip(NEXT) | instid1(VALU_DEP_1)
	v_ashrrev_i32_e32 v11, 31, v10
	v_lshlrev_b64_e32 v[14:15], 2, v[10:11]
	s_delay_alu instid0(VALU_DEP_1) | instskip(SKIP_1) | instid1(VALU_DEP_2)
	v_add_co_u32 v21, vcc_lo, s4, v14
	s_wait_alu 0xfffd
	v_add_co_ci_u32_e64 v22, null, s5, v15, vcc_lo
	v_add_co_u32 v23, vcc_lo, s10, v14
	s_wait_alu 0xfffd
	v_add_co_ci_u32_e64 v24, null, s11, v15, vcc_lo
	global_load_b64 v[9:10], v[12:13], off
	global_load_b32 v11, v[21:22], off offset:4
	global_load_b32 v16, v[23:24], off
	v_add_co_u32 v14, vcc_lo, s12, v14
	s_wait_alu 0xfffd
	v_add_co_ci_u32_e64 v15, null, s13, v15, vcc_lo
.LBB20_35:                              ;   Parent Loop BB20_34 Depth=1
                                        ; =>  This Inner Loop Header: Depth=2
	global_load_b32 v21, v[14:15], off scope:SCOPE_DEV
	s_wait_loadcnt 0x0
	v_cmp_ne_u32_e32 vcc_lo, 0, v21
	s_or_b32 s14, vcc_lo, s14
	s_delay_alu instid0(SALU_CYCLE_1)
	s_and_not1_b32 exec_lo, exec_lo, s14
	s_cbranch_execnz .LBB20_35
; %bb.36:                               ;   in Loop: Header=BB20_34 Depth=1
	s_or_b32 exec_lo, exec_lo, s14
	v_subrev_nc_u32_e32 v21, s28, v11
	v_cmp_eq_u32_e32 vcc_lo, -1, v16
	global_inv scope:SCOPE_DEV
	s_mov_b32 s15, -1
	s_mov_b32 s14, exec_lo
	v_add_nc_u32_e32 v11, -1, v21
	s_wait_alu 0xfffd
	s_delay_alu instid0(VALU_DEP_1) | instskip(NEXT) | instid1(VALU_DEP_1)
	v_cndmask_b32_e32 v14, v16, v11, vcc_lo
	v_ashrrev_i32_e32 v15, 31, v14
	s_delay_alu instid0(VALU_DEP_1) | instskip(NEXT) | instid1(VALU_DEP_1)
	v_lshlrev_b64_e32 v[15:16], 3, v[14:15]
	v_add_co_u32 v15, vcc_lo, s8, v15
	s_wait_alu 0xfffd
	s_delay_alu instid0(VALU_DEP_2)
	v_add_co_ci_u32_e64 v16, null, s9, v16, vcc_lo
	global_load_b64 v[15:16], v[15:16], off
	s_wait_loadcnt 0x0
	v_cmpx_neq_f64_e32 0, v[15:16]
	s_cbranch_execz .LBB20_33
; %bb.37:                               ;   in Loop: Header=BB20_34 Depth=1
	v_div_scale_f64 v[22:23], null, v[15:16], v[15:16], v[9:10]
	v_add_nc_u32_e32 v11, v20, v14
	s_mov_b32 s15, exec_lo
	s_delay_alu instid0(VALU_DEP_2) | instskip(NEXT) | instid1(TRANS32_DEP_1)
	v_rcp_f64_e32 v[24:25], v[22:23]
	v_fma_f64 v[26:27], -v[22:23], v[24:25], 1.0
	s_delay_alu instid0(VALU_DEP_1) | instskip(NEXT) | instid1(VALU_DEP_1)
	v_fma_f64 v[24:25], v[24:25], v[26:27], v[24:25]
	v_fma_f64 v[26:27], -v[22:23], v[24:25], 1.0
	s_delay_alu instid0(VALU_DEP_1) | instskip(SKIP_1) | instid1(VALU_DEP_1)
	v_fma_f64 v[24:25], v[24:25], v[26:27], v[24:25]
	v_div_scale_f64 v[26:27], vcc_lo, v[9:10], v[15:16], v[9:10]
	v_mul_f64_e32 v[28:29], v[26:27], v[24:25]
	s_delay_alu instid0(VALU_DEP_1) | instskip(SKIP_1) | instid1(VALU_DEP_1)
	v_fma_f64 v[22:23], -v[22:23], v[28:29], v[26:27]
	s_wait_alu 0xfffd
	v_div_fmas_f64 v[22:23], v[22:23], v[24:25], v[28:29]
	s_delay_alu instid0(VALU_DEP_1)
	v_div_fixup_f64 v[9:10], v[22:23], v[15:16], v[9:10]
	global_store_b64 v[12:13], v[9:10], off
	v_cmpx_lt_i32_e64 v11, v21
	s_cbranch_execz .LBB20_32
; %bb.38:                               ;   in Loop: Header=BB20_34 Depth=1
	s_mov_b32 s22, 0
	s_branch .LBB20_40
.LBB20_39:                              ;   in Loop: Header=BB20_40 Depth=2
	s_or_b32 exec_lo, exec_lo, s23
	v_add_nc_u32_e32 v11, 64, v11
	s_delay_alu instid0(VALU_DEP_1) | instskip(SKIP_1) | instid1(SALU_CYCLE_1)
	v_cmp_ge_i32_e32 vcc_lo, v11, v21
	s_or_b32 s22, vcc_lo, s22
	s_and_not1_b32 exec_lo, exec_lo, s22
	s_cbranch_execz .LBB20_32
.LBB20_40:                              ;   Parent Loop BB20_34 Depth=1
                                        ; =>  This Loop Header: Depth=2
                                        ;       Child Loop BB20_49 Depth 3
	v_ashrrev_i32_e32 v12, 31, v11
	s_mov_b32 s23, 0
                                        ; implicit-def: $sgpr24
                                        ; implicit-def: $sgpr25
                                        ; implicit-def: $sgpr26
	s_delay_alu instid0(VALU_DEP_1) | instskip(NEXT) | instid1(VALU_DEP_1)
	v_lshlrev_b64_e32 v[13:14], 2, v[11:12]
	v_add_co_u32 v13, vcc_lo, s6, v13
	s_wait_alu 0xfffd
	s_delay_alu instid0(VALU_DEP_2)
	v_add_co_ci_u32_e64 v14, null, s7, v14, vcc_lo
	global_load_b32 v13, v[13:14], off
	v_mov_b32_e32 v14, 64
	s_wait_loadcnt 0x0
	v_mul_lo_u32 v16, v13, 39
	s_branch .LBB20_49
.LBB20_41:                              ;   in Loop: Header=BB20_49 Depth=3
	s_or_b32 exec_lo, exec_lo, s40
	s_delay_alu instid0(SALU_CYCLE_1)
	s_or_not1_b32 s38, s38, exec_lo
	s_or_not1_b32 s39, s39, exec_lo
.LBB20_42:                              ;   in Loop: Header=BB20_49 Depth=3
	s_or_b32 exec_lo, exec_lo, s37
	s_delay_alu instid0(SALU_CYCLE_1)
	s_and_b32 s38, s38, exec_lo
	s_or_not1_b32 s37, s39, exec_lo
.LBB20_43:                              ;   in Loop: Header=BB20_49 Depth=3
	s_or_b32 exec_lo, exec_lo, s36
	s_delay_alu instid0(SALU_CYCLE_1)
	s_or_not1_b32 s36, s38, exec_lo
	s_or_not1_b32 s37, s37, exec_lo
.LBB20_44:                              ;   in Loop: Header=BB20_49 Depth=3
	s_or_b32 exec_lo, exec_lo, s35
	s_delay_alu instid0(SALU_CYCLE_1)
	s_and_b32 s36, s36, exec_lo
	s_or_not1_b32 s35, s37, exec_lo
.LBB20_45:                              ;   in Loop: Header=BB20_49 Depth=3
	s_or_b32 exec_lo, exec_lo, s34
	s_delay_alu instid0(SALU_CYCLE_1)
	s_or_not1_b32 s34, s36, exec_lo
	s_or_not1_b32 s35, s35, exec_lo
.LBB20_46:                              ;   in Loop: Header=BB20_49 Depth=3
	s_or_b32 exec_lo, exec_lo, s33
	s_delay_alu instid0(SALU_CYCLE_1)
	s_and_b32 s34, s34, exec_lo
	s_or_not1_b32 s33, s35, exec_lo
.LBB20_47:                              ;   in Loop: Header=BB20_49 Depth=3
	s_or_b32 exec_lo, exec_lo, s31
	s_wait_alu 0xfffe
	s_and_not1_b32 s26, s26, exec_lo
	s_and_b32 s31, s34, exec_lo
	s_and_not1_b32 s25, s25, exec_lo
	s_and_b32 s33, s33, exec_lo
	s_wait_alu 0xfffe
	s_or_b32 s26, s26, s31
	s_or_b32 s25, s25, s33
.LBB20_48:                              ;   in Loop: Header=BB20_49 Depth=3
	s_wait_alu 0xfffe
	s_or_b32 exec_lo, exec_lo, s27
	s_delay_alu instid0(SALU_CYCLE_1)
	s_and_b32 s27, exec_lo, s25
	s_wait_alu 0xfffe
	s_or_b32 s23, s27, s23
	s_and_not1_b32 s24, s24, exec_lo
	s_and_b32 s27, s26, exec_lo
	s_wait_alu 0xfffe
	s_or_b32 s24, s24, s27
	s_and_not1_b32 exec_lo, exec_lo, s23
	s_cbranch_execz .LBB20_58
.LBB20_49:                              ;   Parent Loop BB20_34 Depth=1
                                        ;     Parent Loop BB20_40 Depth=2
                                        ; =>    This Inner Loop Header: Depth=3
	s_delay_alu instid0(VALU_DEP_1) | instskip(SKIP_3) | instid1(VALU_DEP_1)
	v_and_b32_e32 v15, 63, v16
	s_or_b32 s26, s26, exec_lo
	s_or_b32 s25, s25, exec_lo
	s_mov_b32 s27, exec_lo
	v_lshl_add_u32 v22, v15, 2, v18
	ds_load_b32 v22, v22
	s_wait_dscnt 0x0
	v_cmpx_ne_u32_e32 -1, v22
	s_cbranch_execz .LBB20_48
; %bb.50:                               ;   in Loop: Header=BB20_49 Depth=3
	s_mov_b32 s33, -1
	s_mov_b32 s34, 0
	s_mov_b32 s31, exec_lo
	v_cmpx_ne_u32_e64 v22, v13
	s_cbranch_execz .LBB20_47
; %bb.51:                               ;   in Loop: Header=BB20_49 Depth=3
	v_add_nc_u32_e32 v15, 1, v16
	s_mov_b32 s35, -1
	s_mov_b32 s34, -1
	s_mov_b32 s33, exec_lo
	s_delay_alu instid0(VALU_DEP_1) | instskip(NEXT) | instid1(VALU_DEP_1)
	v_and_b32_e32 v15, 63, v15
	v_lshl_add_u32 v22, v15, 2, v18
	ds_load_b32 v22, v22
	s_wait_dscnt 0x0
	v_cmpx_ne_u32_e32 -1, v22
	s_cbranch_execz .LBB20_46
; %bb.52:                               ;   in Loop: Header=BB20_49 Depth=3
	s_mov_b32 s36, 0
	s_mov_b32 s34, exec_lo
	v_cmpx_ne_u32_e64 v22, v13
	s_cbranch_execz .LBB20_45
; %bb.53:                               ;   in Loop: Header=BB20_49 Depth=3
	v_add_nc_u32_e32 v15, 2, v16
	s_mov_b32 s37, -1
	s_mov_b32 s36, -1
	s_mov_b32 s35, exec_lo
	s_delay_alu instid0(VALU_DEP_1) | instskip(NEXT) | instid1(VALU_DEP_1)
	v_and_b32_e32 v15, 63, v15
	v_lshl_add_u32 v22, v15, 2, v18
	ds_load_b32 v22, v22
	s_wait_dscnt 0x0
	v_cmpx_ne_u32_e32 -1, v22
	s_cbranch_execz .LBB20_44
; %bb.54:                               ;   in Loop: Header=BB20_49 Depth=3
	s_mov_b32 s38, 0
	s_mov_b32 s36, exec_lo
	v_cmpx_ne_u32_e64 v22, v13
	s_cbranch_execz .LBB20_43
; %bb.55:                               ;   in Loop: Header=BB20_49 Depth=3
	v_add_nc_u32_e32 v15, 3, v16
	s_mov_b32 s39, -1
	s_mov_b32 s38, -1
	s_mov_b32 s37, exec_lo
	s_delay_alu instid0(VALU_DEP_1) | instskip(NEXT) | instid1(VALU_DEP_1)
	v_and_b32_e32 v15, 63, v15
	v_lshl_add_u32 v16, v15, 2, v18
	ds_load_b32 v22, v16
                                        ; implicit-def: $vgpr16
	s_wait_dscnt 0x0
	v_cmpx_ne_u32_e32 -1, v22
	s_cbranch_execz .LBB20_42
; %bb.56:                               ;   in Loop: Header=BB20_49 Depth=3
	s_mov_b32 s38, 0
	s_mov_b32 s40, exec_lo
                                        ; implicit-def: $vgpr16
	v_cmpx_ne_u32_e64 v22, v13
	s_cbranch_execz .LBB20_41
; %bb.57:                               ;   in Loop: Header=BB20_49 Depth=3
	v_add_nc_u32_e32 v14, -4, v14
	v_add_nc_u32_e32 v16, 1, v15
	s_mov_b32 s38, exec_lo
	s_delay_alu instid0(VALU_DEP_2)
	v_cmp_eq_u32_e32 vcc_lo, 0, v14
	s_or_not1_b32 s39, vcc_lo, exec_lo
	s_branch .LBB20_41
.LBB20_58:                              ;   in Loop: Header=BB20_40 Depth=2
	s_or_b32 exec_lo, exec_lo, s23
	s_wait_alu 0xfffe
	s_xor_b32 s23, s24, -1
	s_delay_alu instid0(SALU_CYCLE_1)
	s_and_saveexec_b32 s24, s23
	s_wait_alu 0xfffe
	s_xor_b32 s23, exec_lo, s24
	s_cbranch_execz .LBB20_39
; %bb.59:                               ;   in Loop: Header=BB20_40 Depth=2
	v_lshl_add_u32 v13, v15, 2, v19
	v_lshlrev_b64_e32 v[15:16], 3, v[11:12]
	ds_load_b32 v13, v13
	s_wait_dscnt 0x0
	v_ashrrev_i32_e32 v14, 31, v13
	s_delay_alu instid0(VALU_DEP_1) | instskip(SKIP_3) | instid1(VALU_DEP_3)
	v_lshlrev_b64_e32 v[12:13], 3, v[13:14]
	v_add_co_u32 v14, vcc_lo, s8, v15
	s_wait_alu 0xfffd
	v_add_co_ci_u32_e64 v15, null, s9, v16, vcc_lo
	v_add_co_u32 v12, vcc_lo, s8, v12
	s_wait_alu 0xfffd
	v_add_co_ci_u32_e64 v13, null, s9, v13, vcc_lo
	s_clause 0x1
	global_load_b64 v[14:15], v[14:15], off
	global_load_b64 v[22:23], v[12:13], off
	s_wait_loadcnt 0x0
	v_fma_f64 v[14:15], -v[9:10], v[14:15], v[22:23]
	global_store_b64 v[12:13], v[14:15], off
	s_branch .LBB20_39
.LBB20_60:
	s_wait_alu 0xfffe
	s_or_b32 exec_lo, exec_lo, s2
	s_mov_b32 s4, -1
	s_mov_b32 s3, exec_lo
	s_wait_loadcnt 0x0
	s_wait_storecnt 0x0
	global_inv scope:SCOPE_SE
	v_cmpx_lt_i32_e32 -1, v7
	s_cbranch_execz .LBB20_76
; %bb.61:
	v_mov_b32_e32 v8, 0
	v_cmp_eq_u32_e64 s2, 0, v17
	s_delay_alu instid0(VALU_DEP_2) | instskip(NEXT) | instid1(VALU_DEP_1)
	v_lshlrev_b64_e32 v[7:8], 3, v[7:8]
	v_add_co_u32 v11, vcc_lo, s8, v7
	s_wait_alu 0xfffd
	s_delay_alu instid0(VALU_DEP_2)
	v_add_co_ci_u32_e64 v12, null, s9, v8, vcc_lo
	global_load_b64 v[7:8], v[11:12], off
	s_wait_loadcnt 0x0
	v_cmp_gt_f64_e32 vcc_lo, 0, v[7:8]
	v_xor_b32_e32 v10, 0x80000000, v8
	s_wait_alu 0xfffd
	s_delay_alu instid0(VALU_DEP_1)
	v_dual_mov_b32 v9, v7 :: v_dual_cndmask_b32 v10, v8, v10
	s_and_not1_b32 vcc_lo, exec_lo, s29
	s_wait_alu 0xfffe
	s_cbranch_vccnz .LBB20_65
; %bb.62:
	v_cvt_f64_f32_e32 v[13:14], s30
	s_cmp_eq_u64 s[20:21], 8
	s_cselect_b32 vcc_lo, -1, 0
	s_wait_alu 0xfffe
	s_delay_alu instid0(VALU_DEP_1) | instskip(NEXT) | instid1(VALU_DEP_1)
	v_dual_cndmask_b32 v3, v14, v3 :: v_dual_cndmask_b32 v2, v13, v2
	v_cmp_le_f64_e32 vcc_lo, v[9:10], v[2:3]
	s_and_b32 s5, s2, vcc_lo
	s_wait_alu 0xfffe
	s_and_saveexec_b32 s4, s5
	s_cbranch_execz .LBB20_64
; %bb.63:
	global_store_b64 v[11:12], v[4:5], off
	s_wait_storecnt 0x0
	global_inv scope:SCOPE_DEV
.LBB20_64:
	s_wait_alu 0xfffe
	s_or_b32 exec_lo, exec_lo, s4
	s_mov_b32 s4, 0
.LBB20_65:
	s_wait_alu 0xfffe
	s_and_not1_b32 vcc_lo, exec_lo, s4
	s_wait_alu 0xfffe
	s_cbranch_vccnz .LBB20_76
; %bb.66:
	s_load_b64 s[0:1], s[0:1], 0x48
	v_add_nc_u32_e32 v2, s28, v6
	s_wait_kmcnt 0x0
	v_cmp_ge_f64_e32 vcc_lo, s[0:1], v[9:10]
	s_and_b32 s1, s2, vcc_lo
	s_wait_alu 0xfffe
	s_and_saveexec_b32 s0, s1
	s_cbranch_execz .LBB20_71
; %bb.67:
	s_mov_b32 s4, exec_lo
	s_brev_b32 s1, -2
.LBB20_68:                              ; =>This Inner Loop Header: Depth=1
	s_wait_alu 0xfffe
	s_ctz_i32_b32 s5, s4
	s_wait_alu 0xfffe
	v_readlane_b32 s6, v2, s5
	s_lshl_b32 s5, 1, s5
	s_wait_alu 0xfffe
	s_and_not1_b32 s4, s4, s5
	s_min_i32 s1, s1, s6
	s_wait_alu 0xfffe
	s_cmp_lg_u32 s4, 0
	s_cbranch_scc1 .LBB20_68
; %bb.69:
	v_mbcnt_lo_u32_b32 v3, exec_lo, 0
	s_mov_b32 s4, exec_lo
	s_delay_alu instid0(VALU_DEP_1)
	v_cmpx_eq_u32_e32 0, v3
	s_wait_alu 0xfffe
	s_xor_b32 s4, exec_lo, s4
	s_cbranch_execz .LBB20_71
; %bb.70:
	v_dual_mov_b32 v3, 0 :: v_dual_mov_b32 v4, s1
	global_atomic_min_i32 v3, v4, s[18:19] scope:SCOPE_DEV
.LBB20_71:
	s_wait_alu 0xfffe
	s_or_b32 exec_lo, exec_lo, s0
	v_cmp_eq_f64_e32 vcc_lo, 0, v[7:8]
	s_and_b32 s0, s2, vcc_lo
	s_wait_alu 0xfffe
	s_and_b32 exec_lo, exec_lo, s0
	s_cbranch_execz .LBB20_76
; %bb.72:
	s_mov_b32 s1, exec_lo
	s_brev_b32 s0, -2
.LBB20_73:                              ; =>This Inner Loop Header: Depth=1
	s_wait_alu 0xfffe
	s_ctz_i32_b32 s2, s1
	s_wait_alu 0xfffe
	v_readlane_b32 s4, v2, s2
	s_lshl_b32 s2, 1, s2
	s_wait_alu 0xfffe
	s_and_not1_b32 s1, s1, s2
	s_min_i32 s0, s0, s4
	s_wait_alu 0xfffe
	s_cmp_lg_u32 s1, 0
	s_cbranch_scc1 .LBB20_73
; %bb.74:
	v_mbcnt_lo_u32_b32 v2, exec_lo, 0
	s_mov_b32 s1, exec_lo
	s_delay_alu instid0(VALU_DEP_1)
	v_cmpx_eq_u32_e32 0, v2
	s_wait_alu 0xfffe
	s_xor_b32 s1, exec_lo, s1
	s_cbranch_execz .LBB20_76
; %bb.75:
	v_dual_mov_b32 v2, 0 :: v_dual_mov_b32 v3, s0
	global_atomic_min_i32 v2, v3, s[16:17] scope:SCOPE_DEV
.LBB20_76:
	s_wait_alu 0xfffe
	s_or_b32 exec_lo, exec_lo, s3
	v_cmp_eq_u32_e32 vcc_lo, 0, v17
	s_wait_loadcnt 0x0
	s_wait_storecnt 0x0
	global_inv scope:SCOPE_DEV
	s_and_b32 exec_lo, exec_lo, vcc_lo
	s_cbranch_execz .LBB20_78
; %bb.77:
	v_add_co_u32 v0, vcc_lo, s12, v0
	s_wait_alu 0xfffd
	v_add_co_ci_u32_e64 v1, null, s13, v1, vcc_lo
	v_mov_b32_e32 v2, 1
	s_wait_loadcnt 0x0
	global_store_b32 v[0:1], v2, off scope:SCOPE_DEV
.LBB20_78:
	s_endpgm
	.section	.rodata,"a",@progbits
	.p2align	6, 0x0
	.amdhsa_kernel _ZN9rocsparseL12csrilu0_hashILj256ELj64ELj1EdEEviPKiS2_PT2_S2_PiS2_S5_S5_d21rocsparse_index_base_imNS_24const_host_device_scalarIfEENS7_IdEENS7_IS3_EEb
		.amdhsa_group_segment_fixed_size 2048
		.amdhsa_private_segment_fixed_size 0
		.amdhsa_kernarg_size 124
		.amdhsa_user_sgpr_count 2
		.amdhsa_user_sgpr_dispatch_ptr 0
		.amdhsa_user_sgpr_queue_ptr 0
		.amdhsa_user_sgpr_kernarg_segment_ptr 1
		.amdhsa_user_sgpr_dispatch_id 0
		.amdhsa_user_sgpr_private_segment_size 0
		.amdhsa_wavefront_size32 1
		.amdhsa_uses_dynamic_stack 0
		.amdhsa_enable_private_segment 0
		.amdhsa_system_sgpr_workgroup_id_x 1
		.amdhsa_system_sgpr_workgroup_id_y 0
		.amdhsa_system_sgpr_workgroup_id_z 0
		.amdhsa_system_sgpr_workgroup_info 0
		.amdhsa_system_vgpr_workitem_id 0
		.amdhsa_next_free_vgpr 30
		.amdhsa_next_free_sgpr 41
		.amdhsa_reserve_vcc 1
		.amdhsa_float_round_mode_32 0
		.amdhsa_float_round_mode_16_64 0
		.amdhsa_float_denorm_mode_32 3
		.amdhsa_float_denorm_mode_16_64 3
		.amdhsa_fp16_overflow 0
		.amdhsa_workgroup_processor_mode 1
		.amdhsa_memory_ordered 1
		.amdhsa_forward_progress 1
		.amdhsa_inst_pref_size 25
		.amdhsa_round_robin_scheduling 0
		.amdhsa_exception_fp_ieee_invalid_op 0
		.amdhsa_exception_fp_denorm_src 0
		.amdhsa_exception_fp_ieee_div_zero 0
		.amdhsa_exception_fp_ieee_overflow 0
		.amdhsa_exception_fp_ieee_underflow 0
		.amdhsa_exception_fp_ieee_inexact 0
		.amdhsa_exception_int_div_zero 0
	.end_amdhsa_kernel
	.section	.text._ZN9rocsparseL12csrilu0_hashILj256ELj64ELj1EdEEviPKiS2_PT2_S2_PiS2_S5_S5_d21rocsparse_index_base_imNS_24const_host_device_scalarIfEENS7_IdEENS7_IS3_EEb,"axG",@progbits,_ZN9rocsparseL12csrilu0_hashILj256ELj64ELj1EdEEviPKiS2_PT2_S2_PiS2_S5_S5_d21rocsparse_index_base_imNS_24const_host_device_scalarIfEENS7_IdEENS7_IS3_EEb,comdat
.Lfunc_end20:
	.size	_ZN9rocsparseL12csrilu0_hashILj256ELj64ELj1EdEEviPKiS2_PT2_S2_PiS2_S5_S5_d21rocsparse_index_base_imNS_24const_host_device_scalarIfEENS7_IdEENS7_IS3_EEb, .Lfunc_end20-_ZN9rocsparseL12csrilu0_hashILj256ELj64ELj1EdEEviPKiS2_PT2_S2_PiS2_S5_S5_d21rocsparse_index_base_imNS_24const_host_device_scalarIfEENS7_IdEENS7_IS3_EEb
                                        ; -- End function
	.set _ZN9rocsparseL12csrilu0_hashILj256ELj64ELj1EdEEviPKiS2_PT2_S2_PiS2_S5_S5_d21rocsparse_index_base_imNS_24const_host_device_scalarIfEENS7_IdEENS7_IS3_EEb.num_vgpr, 30
	.set _ZN9rocsparseL12csrilu0_hashILj256ELj64ELj1EdEEviPKiS2_PT2_S2_PiS2_S5_S5_d21rocsparse_index_base_imNS_24const_host_device_scalarIfEENS7_IdEENS7_IS3_EEb.num_agpr, 0
	.set _ZN9rocsparseL12csrilu0_hashILj256ELj64ELj1EdEEviPKiS2_PT2_S2_PiS2_S5_S5_d21rocsparse_index_base_imNS_24const_host_device_scalarIfEENS7_IdEENS7_IS3_EEb.numbered_sgpr, 41
	.set _ZN9rocsparseL12csrilu0_hashILj256ELj64ELj1EdEEviPKiS2_PT2_S2_PiS2_S5_S5_d21rocsparse_index_base_imNS_24const_host_device_scalarIfEENS7_IdEENS7_IS3_EEb.num_named_barrier, 0
	.set _ZN9rocsparseL12csrilu0_hashILj256ELj64ELj1EdEEviPKiS2_PT2_S2_PiS2_S5_S5_d21rocsparse_index_base_imNS_24const_host_device_scalarIfEENS7_IdEENS7_IS3_EEb.private_seg_size, 0
	.set _ZN9rocsparseL12csrilu0_hashILj256ELj64ELj1EdEEviPKiS2_PT2_S2_PiS2_S5_S5_d21rocsparse_index_base_imNS_24const_host_device_scalarIfEENS7_IdEENS7_IS3_EEb.uses_vcc, 1
	.set _ZN9rocsparseL12csrilu0_hashILj256ELj64ELj1EdEEviPKiS2_PT2_S2_PiS2_S5_S5_d21rocsparse_index_base_imNS_24const_host_device_scalarIfEENS7_IdEENS7_IS3_EEb.uses_flat_scratch, 0
	.set _ZN9rocsparseL12csrilu0_hashILj256ELj64ELj1EdEEviPKiS2_PT2_S2_PiS2_S5_S5_d21rocsparse_index_base_imNS_24const_host_device_scalarIfEENS7_IdEENS7_IS3_EEb.has_dyn_sized_stack, 0
	.set _ZN9rocsparseL12csrilu0_hashILj256ELj64ELj1EdEEviPKiS2_PT2_S2_PiS2_S5_S5_d21rocsparse_index_base_imNS_24const_host_device_scalarIfEENS7_IdEENS7_IS3_EEb.has_recursion, 0
	.set _ZN9rocsparseL12csrilu0_hashILj256ELj64ELj1EdEEviPKiS2_PT2_S2_PiS2_S5_S5_d21rocsparse_index_base_imNS_24const_host_device_scalarIfEENS7_IdEENS7_IS3_EEb.has_indirect_call, 0
	.section	.AMDGPU.csdata,"",@progbits
; Kernel info:
; codeLenInByte = 3136
; TotalNumSgprs: 43
; NumVgprs: 30
; ScratchSize: 0
; MemoryBound: 0
; FloatMode: 240
; IeeeMode: 1
; LDSByteSize: 2048 bytes/workgroup (compile time only)
; SGPRBlocks: 0
; VGPRBlocks: 3
; NumSGPRsForWavesPerEU: 43
; NumVGPRsForWavesPerEU: 30
; Occupancy: 16
; WaveLimiterHint : 1
; COMPUTE_PGM_RSRC2:SCRATCH_EN: 0
; COMPUTE_PGM_RSRC2:USER_SGPR: 2
; COMPUTE_PGM_RSRC2:TRAP_HANDLER: 0
; COMPUTE_PGM_RSRC2:TGID_X_EN: 1
; COMPUTE_PGM_RSRC2:TGID_Y_EN: 0
; COMPUTE_PGM_RSRC2:TGID_Z_EN: 0
; COMPUTE_PGM_RSRC2:TIDIG_COMP_CNT: 0
	.section	.text._ZN9rocsparseL12csrilu0_hashILj256ELj64ELj2EdEEviPKiS2_PT2_S2_PiS2_S5_S5_d21rocsparse_index_base_imNS_24const_host_device_scalarIfEENS7_IdEENS7_IS3_EEb,"axG",@progbits,_ZN9rocsparseL12csrilu0_hashILj256ELj64ELj2EdEEviPKiS2_PT2_S2_PiS2_S5_S5_d21rocsparse_index_base_imNS_24const_host_device_scalarIfEENS7_IdEENS7_IS3_EEb,comdat
	.globl	_ZN9rocsparseL12csrilu0_hashILj256ELj64ELj2EdEEviPKiS2_PT2_S2_PiS2_S5_S5_d21rocsparse_index_base_imNS_24const_host_device_scalarIfEENS7_IdEENS7_IS3_EEb ; -- Begin function _ZN9rocsparseL12csrilu0_hashILj256ELj64ELj2EdEEviPKiS2_PT2_S2_PiS2_S5_S5_d21rocsparse_index_base_imNS_24const_host_device_scalarIfEENS7_IdEENS7_IS3_EEb
	.p2align	8
	.type	_ZN9rocsparseL12csrilu0_hashILj256ELj64ELj2EdEEviPKiS2_PT2_S2_PiS2_S5_S5_d21rocsparse_index_base_imNS_24const_host_device_scalarIfEENS7_IdEENS7_IS3_EEb,@function
_ZN9rocsparseL12csrilu0_hashILj256ELj64ELj2EdEEviPKiS2_PT2_S2_PiS2_S5_S5_d21rocsparse_index_base_imNS_24const_host_device_scalarIfEENS7_IdEENS7_IS3_EEb: ; @_ZN9rocsparseL12csrilu0_hashILj256ELj64ELj2EdEEviPKiS2_PT2_S2_PiS2_S5_S5_d21rocsparse_index_base_imNS_24const_host_device_scalarIfEENS7_IdEENS7_IS3_EEb
; %bb.0:
	s_clause 0x2
	s_load_b32 s2, s[0:1], 0x78
	s_load_b64 s[28:29], s[0:1], 0x50
	s_load_b256 s[20:27], s[0:1], 0x58
	s_wait_kmcnt 0x0
	s_bitcmp1_b32 s2, 0
	s_cselect_b32 s2, -1, 0
	s_cmp_eq_u32 s29, 0
	s_cselect_b32 s4, -1, 0
	s_cmp_lg_u32 s29, 0
	s_cselect_b32 s29, -1, 0
	s_or_b32 s6, s4, s2
	s_delay_alu instid0(SALU_CYCLE_1)
	s_xor_b32 s5, s6, -1
	s_and_b32 s2, s4, exec_lo
	s_cselect_b32 s3, 0, s25
	s_cselect_b32 s2, 0, s24
	;; [unrolled: 1-line block ×3, first 2 shown]
	s_and_b32 vcc_lo, exec_lo, s6
	s_cbranch_vccnz .LBB21_2
; %bb.1:
	s_load_b32 s30, s[22:23], 0x0
	s_mov_b64 s[2:3], s[24:25]
.LBB21_2:
	v_cndmask_b32_e64 v1, 0, 1, s5
	v_dual_mov_b32 v4, s3 :: v_dual_mov_b32 v3, s2
	s_and_not1_b32 vcc_lo, exec_lo, s5
	s_cbranch_vccnz .LBB21_4
; %bb.3:
	v_dual_mov_b32 v2, s24 :: v_dual_mov_b32 v3, s25
	flat_load_b64 v[3:4], v[2:3]
.LBB21_4:
	s_and_b32 s2, s4, exec_lo
	s_cselect_b32 s3, 0, s27
	v_cmp_ne_u32_e32 vcc_lo, 1, v1
	s_cselect_b32 s2, 0, s26
	s_wait_alu 0xfffe
	v_dual_mov_b32 v6, s3 :: v_dual_mov_b32 v5, s2
	s_mov_b32 s2, 0
	s_cbranch_vccnz .LBB21_6
; %bb.5:
	v_dual_mov_b32 v1, s26 :: v_dual_mov_b32 v2, s27
	flat_load_b64 v[5:6], v[1:2]
.LBB21_6:
	v_lshrrev_b32_e32 v1, 6, v0
	v_and_b32_e32 v18, 63, v0
	s_delay_alu instid0(VALU_DEP_2) | instskip(NEXT) | instid1(VALU_DEP_2)
	v_lshlrev_b32_e32 v7, 9, v1
	v_lshlrev_b32_e32 v8, 2, v18
	v_or_b32_e32 v2, 0xffffffc0, v18
	s_delay_alu instid0(VALU_DEP_2)
	v_or3_b32 v7, v7, v8, 0x800
	v_mov_b32_e32 v8, -1
.LBB21_7:                               ; =>This Inner Loop Header: Depth=1
	s_delay_alu instid0(VALU_DEP_3)
	v_add_co_u32 v2, s3, v2, 64
	s_xor_b32 s3, s3, -1
	ds_store_b32 v7, v8
	v_add_nc_u32_e32 v7, 0x100, v7
	s_wait_alu 0xfffe
	s_and_b32 s3, exec_lo, s3
	s_wait_alu 0xfffe
	s_or_b32 s2, s3, s2
	s_wait_alu 0xfffe
	s_and_not1_b32 exec_lo, exec_lo, s2
	s_cbranch_execnz .LBB21_7
; %bb.8:
	s_or_b32 exec_lo, exec_lo, s2
	s_load_b32 s2, s[0:1], 0x0
	s_lshl_b32 s3, ttmp9, 2
	s_wait_loadcnt_dscnt 0x0
	global_inv scope:SCOPE_SE
	s_wait_alu 0xfffe
	v_and_or_b32 v1, 0x3fffffc, s3, v1
	s_wait_kmcnt 0x0
	s_delay_alu instid0(VALU_DEP_1)
	v_cmp_gt_i32_e32 vcc_lo, s2, v1
	s_and_saveexec_b32 s2, vcc_lo
	s_cbranch_execz .LBB21_80
; %bb.9:
	s_load_b512 s[4:19], s[0:1], 0x8
	v_lshlrev_b32_e32 v1, 2, v1
	v_lshlrev_b32_e32 v0, 3, v0
	s_mov_b32 s2, exec_lo
	s_delay_alu instid0(VALU_DEP_1) | instskip(NEXT) | instid1(VALU_DEP_1)
	v_and_b32_e32 v0, 0x600, v0
	v_or_b32_e32 v19, 0x800, v0
	s_wait_kmcnt 0x0
	global_load_b32 v7, v1, s[14:15]
	s_wait_loadcnt 0x0
	v_ashrrev_i32_e32 v8, 31, v7
	s_delay_alu instid0(VALU_DEP_1) | instskip(NEXT) | instid1(VALU_DEP_1)
	v_lshlrev_b64_e32 v[1:2], 2, v[7:8]
	v_add_co_u32 v8, vcc_lo, s4, v1
	s_delay_alu instid0(VALU_DEP_1)
	v_add_co_ci_u32_e64 v9, null, s5, v2, vcc_lo
	v_add_co_u32 v11, vcc_lo, s10, v1
	s_wait_alu 0xfffd
	v_add_co_ci_u32_e64 v12, null, s11, v2, vcc_lo
	global_load_b64 v[9:10], v[8:9], off
	global_load_b32 v8, v[11:12], off
	s_wait_loadcnt 0x1
	v_subrev_nc_u32_e32 v9, s28, v9
	v_subrev_nc_u32_e32 v12, s28, v10
	s_delay_alu instid0(VALU_DEP_2) | instskip(NEXT) | instid1(VALU_DEP_1)
	v_add_nc_u32_e32 v10, v9, v18
	v_cmpx_lt_i32_e64 v10, v12
	s_cbranch_execz .LBB21_32
; %bb.10:
	v_mov_b32_e32 v13, -1
	s_mov_b32 s3, 0
	s_branch .LBB21_12
.LBB21_11:                              ;   in Loop: Header=BB21_12 Depth=1
	s_or_b32 exec_lo, exec_lo, s14
	v_add_nc_u32_e32 v10, 64, v10
	s_delay_alu instid0(VALU_DEP_1)
	v_cmp_ge_i32_e32 vcc_lo, v10, v12
	s_or_b32 s3, vcc_lo, s3
	s_wait_alu 0xfffe
	s_and_not1_b32 exec_lo, exec_lo, s3
	s_cbranch_execz .LBB21_32
.LBB21_12:                              ; =>This Loop Header: Depth=1
                                        ;     Child Loop BB21_21 Depth 2
	v_ashrrev_i32_e32 v11, 31, v10
	s_mov_b32 s14, 0
                                        ; implicit-def: $sgpr15
                                        ; implicit-def: $sgpr22
                                        ; implicit-def: $sgpr23
	s_delay_alu instid0(VALU_DEP_1) | instskip(NEXT) | instid1(VALU_DEP_1)
	v_lshlrev_b64_e32 v[14:15], 2, v[10:11]
	v_add_co_u32 v14, vcc_lo, s6, v14
	s_wait_alu 0xfffd
	s_delay_alu instid0(VALU_DEP_2)
	v_add_co_ci_u32_e64 v15, null, s7, v15, vcc_lo
	global_load_b32 v11, v[14:15], off
	v_mov_b32_e32 v14, 0x80
	s_wait_loadcnt 0x0
	v_mul_lo_u32 v16, 0x67, v11
	s_branch .LBB21_21
.LBB21_13:                              ;   in Loop: Header=BB21_21 Depth=2
	s_or_b32 exec_lo, exec_lo, s37
	s_delay_alu instid0(SALU_CYCLE_1)
	s_or_not1_b32 s35, s35, exec_lo
	s_or_not1_b32 s36, s36, exec_lo
.LBB21_14:                              ;   in Loop: Header=BB21_21 Depth=2
	s_or_b32 exec_lo, exec_lo, s34
	s_delay_alu instid0(SALU_CYCLE_1)
	s_and_b32 s35, s35, exec_lo
	s_or_not1_b32 s34, s36, exec_lo
.LBB21_15:                              ;   in Loop: Header=BB21_21 Depth=2
	s_or_b32 exec_lo, exec_lo, s33
	s_delay_alu instid0(SALU_CYCLE_1)
	s_or_not1_b32 s33, s35, exec_lo
	s_or_not1_b32 s34, s34, exec_lo
.LBB21_16:                              ;   in Loop: Header=BB21_21 Depth=2
	s_or_b32 exec_lo, exec_lo, s31
	s_delay_alu instid0(SALU_CYCLE_1)
	s_and_b32 s33, s33, exec_lo
	s_or_not1_b32 s31, s34, exec_lo
.LBB21_17:                              ;   in Loop: Header=BB21_21 Depth=2
	s_wait_alu 0xfffe
	s_or_b32 exec_lo, exec_lo, s27
	s_delay_alu instid0(SALU_CYCLE_1)
	s_or_not1_b32 s27, s33, exec_lo
	s_or_not1_b32 s31, s31, exec_lo
.LBB21_18:                              ;   in Loop: Header=BB21_21 Depth=2
	s_wait_alu 0xfffe
	s_or_b32 exec_lo, exec_lo, s26
	s_delay_alu instid0(SALU_CYCLE_1)
	s_and_b32 s27, s27, exec_lo
	s_or_not1_b32 s26, s31, exec_lo
.LBB21_19:                              ;   in Loop: Header=BB21_21 Depth=2
	s_wait_alu 0xfffe
	s_or_b32 exec_lo, exec_lo, s25
	s_delay_alu instid0(SALU_CYCLE_1)
	s_and_not1_b32 s23, s23, exec_lo
	s_and_b32 s25, s27, exec_lo
	s_and_not1_b32 s22, s22, exec_lo
	s_and_b32 s26, s26, exec_lo
	s_wait_alu 0xfffe
	s_or_b32 s23, s23, s25
	s_or_b32 s22, s22, s26
.LBB21_20:                              ;   in Loop: Header=BB21_21 Depth=2
	s_wait_alu 0xfffe
	s_or_b32 exec_lo, exec_lo, s24
	s_delay_alu instid0(SALU_CYCLE_1)
	s_and_b32 s24, exec_lo, s22
	s_wait_alu 0xfffe
	s_or_b32 s14, s24, s14
	s_and_not1_b32 s15, s15, exec_lo
	s_and_b32 s24, s23, exec_lo
	s_wait_alu 0xfffe
	s_or_b32 s15, s15, s24
	s_and_not1_b32 exec_lo, exec_lo, s14
	s_cbranch_execz .LBB21_30
.LBB21_21:                              ;   Parent Loop BB21_12 Depth=1
                                        ; =>  This Inner Loop Header: Depth=2
	s_delay_alu instid0(VALU_DEP_1) | instskip(SKIP_3) | instid1(VALU_DEP_1)
	v_and_b32_e32 v15, 0x7f, v16
	s_or_b32 s23, s23, exec_lo
	s_or_b32 s22, s22, exec_lo
	s_mov_b32 s24, exec_lo
	v_lshl_add_u32 v17, v15, 2, v19
	ds_load_b32 v20, v17
	s_wait_dscnt 0x0
	v_cmpx_ne_u32_e64 v20, v11
	s_cbranch_execz .LBB21_20
; %bb.22:                               ;   in Loop: Header=BB21_21 Depth=2
	ds_cmpstore_rtn_b32 v17, v17, v11, v13
	s_mov_b32 s26, -1
	s_mov_b32 s27, 0
	s_mov_b32 s25, exec_lo
	s_wait_dscnt 0x0
	v_cmpx_ne_u32_e32 -1, v17
	s_cbranch_execz .LBB21_19
; %bb.23:                               ;   in Loop: Header=BB21_21 Depth=2
	v_add_nc_u32_e32 v15, 1, v16
	s_mov_b32 s31, -1
	s_mov_b32 s27, -1
	s_mov_b32 s26, exec_lo
	s_delay_alu instid0(VALU_DEP_1) | instskip(NEXT) | instid1(VALU_DEP_1)
	v_and_b32_e32 v15, 0x7f, v15
	v_lshl_add_u32 v17, v15, 2, v19
	ds_load_b32 v20, v17
	s_wait_dscnt 0x0
	v_cmpx_ne_u32_e64 v20, v11
	s_cbranch_execz .LBB21_18
; %bb.24:                               ;   in Loop: Header=BB21_21 Depth=2
	ds_cmpstore_rtn_b32 v17, v17, v11, v13
	s_mov_b32 s33, 0
	s_mov_b32 s27, exec_lo
	s_wait_dscnt 0x0
	v_cmpx_ne_u32_e32 -1, v17
	s_cbranch_execz .LBB21_17
; %bb.25:                               ;   in Loop: Header=BB21_21 Depth=2
	v_add_nc_u32_e32 v15, 2, v16
	s_mov_b32 s34, -1
	s_mov_b32 s33, -1
	s_mov_b32 s31, exec_lo
	s_delay_alu instid0(VALU_DEP_1) | instskip(NEXT) | instid1(VALU_DEP_1)
	v_and_b32_e32 v15, 0x7f, v15
	v_lshl_add_u32 v17, v15, 2, v19
	ds_load_b32 v20, v17
	s_wait_dscnt 0x0
	v_cmpx_ne_u32_e64 v20, v11
	s_cbranch_execz .LBB21_16
; %bb.26:                               ;   in Loop: Header=BB21_21 Depth=2
	ds_cmpstore_rtn_b32 v17, v17, v11, v13
	s_mov_b32 s35, 0
	s_mov_b32 s33, exec_lo
	s_wait_dscnt 0x0
	v_cmpx_ne_u32_e32 -1, v17
	s_cbranch_execz .LBB21_15
; %bb.27:                               ;   in Loop: Header=BB21_21 Depth=2
	v_add_nc_u32_e32 v15, 3, v16
	s_mov_b32 s36, -1
	s_mov_b32 s35, -1
	s_delay_alu instid0(VALU_DEP_1) | instskip(NEXT) | instid1(VALU_DEP_1)
	v_and_b32_e32 v15, 0x7f, v15
	v_lshl_add_u32 v17, v15, 2, v19
	ds_load_b32 v16, v17
	s_wait_dscnt 0x0
	v_cmp_ne_u32_e32 vcc_lo, v16, v11
                                        ; implicit-def: $vgpr16
	s_and_saveexec_b32 s34, vcc_lo
	s_cbranch_execz .LBB21_14
; %bb.28:                               ;   in Loop: Header=BB21_21 Depth=2
	ds_cmpstore_rtn_b32 v16, v17, v11, v13
	s_mov_b32 s35, 0
	s_wait_dscnt 0x0
	v_cmp_ne_u32_e32 vcc_lo, -1, v16
                                        ; implicit-def: $vgpr16
	s_and_saveexec_b32 s37, vcc_lo
	s_cbranch_execz .LBB21_13
; %bb.29:                               ;   in Loop: Header=BB21_21 Depth=2
	v_add_nc_u32_e32 v14, -4, v14
	v_add_nc_u32_e32 v16, 1, v15
	s_mov_b32 s35, exec_lo
	s_delay_alu instid0(VALU_DEP_2)
	v_cmp_eq_u32_e32 vcc_lo, 0, v14
	s_or_not1_b32 s36, vcc_lo, exec_lo
	s_branch .LBB21_13
.LBB21_30:                              ;   in Loop: Header=BB21_12 Depth=1
	s_or_b32 exec_lo, exec_lo, s14
	s_xor_b32 s14, s15, -1
	s_delay_alu instid0(SALU_CYCLE_1) | instskip(NEXT) | instid1(SALU_CYCLE_1)
	s_and_saveexec_b32 s15, s14
	s_xor_b32 s14, exec_lo, s15
	s_cbranch_execz .LBB21_11
; %bb.31:                               ;   in Loop: Header=BB21_12 Depth=1
	v_lshl_add_u32 v11, v15, 2, v0
	ds_store_b32 v11, v10
	s_branch .LBB21_11
.LBB21_32:
	s_wait_alu 0xfffe
	s_or_b32 exec_lo, exec_lo, s2
	s_delay_alu instid0(SALU_CYCLE_1)
	s_mov_b32 s2, exec_lo
	s_wait_loadcnt_dscnt 0x0
	global_inv scope:SCOPE_SE
	v_cmpx_lt_i32_e64 v9, v8
	s_cbranch_execz .LBB21_62
; %bb.33:
	v_add_nc_u32_e32 v20, 1, v18
	s_mov_b32 s3, 0
	s_branch .LBB21_36
.LBB21_34:                              ;   in Loop: Header=BB21_36 Depth=1
	s_or_b32 exec_lo, exec_lo, s15
	v_add_nc_u32_e32 v9, 1, v9
	s_delay_alu instid0(VALU_DEP_1)
	v_cmp_ge_i32_e32 vcc_lo, v9, v8
	s_or_not1_b32 s15, vcc_lo, exec_lo
.LBB21_35:                              ;   in Loop: Header=BB21_36 Depth=1
	s_or_b32 exec_lo, exec_lo, s14
	s_delay_alu instid0(SALU_CYCLE_1)
	s_and_b32 s14, exec_lo, s15
	s_wait_alu 0xfffe
	s_or_b32 s3, s14, s3
	s_wait_alu 0xfffe
	s_and_not1_b32 exec_lo, exec_lo, s3
	s_cbranch_execz .LBB21_62
.LBB21_36:                              ; =>This Loop Header: Depth=1
                                        ;     Child Loop BB21_37 Depth 2
                                        ;     Child Loop BB21_42 Depth 2
                                        ;       Child Loop BB21_51 Depth 3
	v_ashrrev_i32_e32 v10, 31, v9
	s_mov_b32 s14, 0
	s_delay_alu instid0(VALU_DEP_1) | instskip(SKIP_1) | instid1(VALU_DEP_2)
	v_lshlrev_b64_e32 v[11:12], 2, v[9:10]
	v_lshlrev_b64_e32 v[13:14], 3, v[9:10]
	v_add_co_u32 v11, vcc_lo, s6, v11
	s_wait_alu 0xfffd
	s_delay_alu instid0(VALU_DEP_3) | instskip(NEXT) | instid1(VALU_DEP_3)
	v_add_co_ci_u32_e64 v12, null, s7, v12, vcc_lo
	v_add_co_u32 v13, vcc_lo, s8, v13
	s_wait_alu 0xfffd
	v_add_co_ci_u32_e64 v14, null, s9, v14, vcc_lo
	global_load_b32 v11, v[11:12], off
	s_wait_loadcnt 0x0
	v_subrev_nc_u32_e32 v11, s28, v11
	s_delay_alu instid0(VALU_DEP_1) | instskip(NEXT) | instid1(VALU_DEP_1)
	v_ashrrev_i32_e32 v12, 31, v11
	v_lshlrev_b64_e32 v[15:16], 2, v[11:12]
	s_delay_alu instid0(VALU_DEP_1) | instskip(SKIP_1) | instid1(VALU_DEP_2)
	v_add_co_u32 v21, vcc_lo, s4, v15
	s_wait_alu 0xfffd
	v_add_co_ci_u32_e64 v22, null, s5, v16, vcc_lo
	v_add_co_u32 v23, vcc_lo, s10, v15
	s_wait_alu 0xfffd
	v_add_co_ci_u32_e64 v24, null, s11, v16, vcc_lo
	global_load_b64 v[10:11], v[13:14], off
	global_load_b32 v12, v[21:22], off offset:4
	global_load_b32 v17, v[23:24], off
	v_add_co_u32 v15, vcc_lo, s12, v15
	s_wait_alu 0xfffd
	v_add_co_ci_u32_e64 v16, null, s13, v16, vcc_lo
.LBB21_37:                              ;   Parent Loop BB21_36 Depth=1
                                        ; =>  This Inner Loop Header: Depth=2
	global_load_b32 v21, v[15:16], off scope:SCOPE_DEV
	s_wait_loadcnt 0x0
	v_cmp_ne_u32_e32 vcc_lo, 0, v21
	s_or_b32 s14, vcc_lo, s14
	s_delay_alu instid0(SALU_CYCLE_1)
	s_and_not1_b32 exec_lo, exec_lo, s14
	s_cbranch_execnz .LBB21_37
; %bb.38:                               ;   in Loop: Header=BB21_36 Depth=1
	s_or_b32 exec_lo, exec_lo, s14
	v_subrev_nc_u32_e32 v21, s28, v12
	v_cmp_eq_u32_e32 vcc_lo, -1, v17
	global_inv scope:SCOPE_DEV
	s_mov_b32 s15, -1
	s_mov_b32 s14, exec_lo
	v_add_nc_u32_e32 v12, -1, v21
	s_wait_alu 0xfffd
	s_delay_alu instid0(VALU_DEP_1) | instskip(NEXT) | instid1(VALU_DEP_1)
	v_cndmask_b32_e32 v15, v17, v12, vcc_lo
	v_ashrrev_i32_e32 v16, 31, v15
	s_delay_alu instid0(VALU_DEP_1) | instskip(NEXT) | instid1(VALU_DEP_1)
	v_lshlrev_b64_e32 v[16:17], 3, v[15:16]
	v_add_co_u32 v16, vcc_lo, s8, v16
	s_wait_alu 0xfffd
	s_delay_alu instid0(VALU_DEP_2)
	v_add_co_ci_u32_e64 v17, null, s9, v17, vcc_lo
	global_load_b64 v[16:17], v[16:17], off
	s_wait_loadcnt 0x0
	v_cmpx_neq_f64_e32 0, v[16:17]
	s_cbranch_execz .LBB21_35
; %bb.39:                               ;   in Loop: Header=BB21_36 Depth=1
	v_div_scale_f64 v[22:23], null, v[16:17], v[16:17], v[10:11]
	v_add_nc_u32_e32 v12, v20, v15
	s_mov_b32 s15, exec_lo
	s_delay_alu instid0(VALU_DEP_2) | instskip(NEXT) | instid1(TRANS32_DEP_1)
	v_rcp_f64_e32 v[24:25], v[22:23]
	v_fma_f64 v[26:27], -v[22:23], v[24:25], 1.0
	s_delay_alu instid0(VALU_DEP_1) | instskip(NEXT) | instid1(VALU_DEP_1)
	v_fma_f64 v[24:25], v[24:25], v[26:27], v[24:25]
	v_fma_f64 v[26:27], -v[22:23], v[24:25], 1.0
	s_delay_alu instid0(VALU_DEP_1) | instskip(SKIP_1) | instid1(VALU_DEP_1)
	v_fma_f64 v[24:25], v[24:25], v[26:27], v[24:25]
	v_div_scale_f64 v[26:27], vcc_lo, v[10:11], v[16:17], v[10:11]
	v_mul_f64_e32 v[28:29], v[26:27], v[24:25]
	s_delay_alu instid0(VALU_DEP_1) | instskip(SKIP_1) | instid1(VALU_DEP_1)
	v_fma_f64 v[22:23], -v[22:23], v[28:29], v[26:27]
	s_wait_alu 0xfffd
	v_div_fmas_f64 v[22:23], v[22:23], v[24:25], v[28:29]
	s_delay_alu instid0(VALU_DEP_1)
	v_div_fixup_f64 v[10:11], v[22:23], v[16:17], v[10:11]
	global_store_b64 v[13:14], v[10:11], off
	v_cmpx_lt_i32_e64 v12, v21
	s_cbranch_execz .LBB21_34
; %bb.40:                               ;   in Loop: Header=BB21_36 Depth=1
	s_mov_b32 s22, 0
	s_branch .LBB21_42
.LBB21_41:                              ;   in Loop: Header=BB21_42 Depth=2
	s_or_b32 exec_lo, exec_lo, s23
	v_add_nc_u32_e32 v12, 64, v12
	s_delay_alu instid0(VALU_DEP_1) | instskip(SKIP_1) | instid1(SALU_CYCLE_1)
	v_cmp_ge_i32_e32 vcc_lo, v12, v21
	s_or_b32 s22, vcc_lo, s22
	s_and_not1_b32 exec_lo, exec_lo, s22
	s_cbranch_execz .LBB21_34
.LBB21_42:                              ;   Parent Loop BB21_36 Depth=1
                                        ; =>  This Loop Header: Depth=2
                                        ;       Child Loop BB21_51 Depth 3
	v_ashrrev_i32_e32 v13, 31, v12
	s_mov_b32 s23, 0
                                        ; implicit-def: $sgpr24
                                        ; implicit-def: $sgpr25
                                        ; implicit-def: $sgpr26
	s_delay_alu instid0(VALU_DEP_1) | instskip(NEXT) | instid1(VALU_DEP_1)
	v_lshlrev_b64_e32 v[14:15], 2, v[12:13]
	v_add_co_u32 v14, vcc_lo, s6, v14
	s_wait_alu 0xfffd
	s_delay_alu instid0(VALU_DEP_2)
	v_add_co_ci_u32_e64 v15, null, s7, v15, vcc_lo
	global_load_b32 v14, v[14:15], off
	v_mov_b32_e32 v15, 0x80
	s_wait_loadcnt 0x0
	v_mul_lo_u32 v17, 0x67, v14
	s_branch .LBB21_51
.LBB21_43:                              ;   in Loop: Header=BB21_51 Depth=3
	s_or_b32 exec_lo, exec_lo, s40
	s_delay_alu instid0(SALU_CYCLE_1)
	s_or_not1_b32 s38, s38, exec_lo
	s_or_not1_b32 s39, s39, exec_lo
.LBB21_44:                              ;   in Loop: Header=BB21_51 Depth=3
	s_or_b32 exec_lo, exec_lo, s37
	s_delay_alu instid0(SALU_CYCLE_1)
	s_and_b32 s38, s38, exec_lo
	s_or_not1_b32 s37, s39, exec_lo
.LBB21_45:                              ;   in Loop: Header=BB21_51 Depth=3
	s_or_b32 exec_lo, exec_lo, s36
	s_delay_alu instid0(SALU_CYCLE_1)
	s_or_not1_b32 s36, s38, exec_lo
	s_or_not1_b32 s37, s37, exec_lo
.LBB21_46:                              ;   in Loop: Header=BB21_51 Depth=3
	s_or_b32 exec_lo, exec_lo, s35
	s_delay_alu instid0(SALU_CYCLE_1)
	s_and_b32 s36, s36, exec_lo
	s_or_not1_b32 s35, s37, exec_lo
.LBB21_47:                              ;   in Loop: Header=BB21_51 Depth=3
	s_or_b32 exec_lo, exec_lo, s34
	s_delay_alu instid0(SALU_CYCLE_1)
	s_or_not1_b32 s34, s36, exec_lo
	s_or_not1_b32 s35, s35, exec_lo
.LBB21_48:                              ;   in Loop: Header=BB21_51 Depth=3
	s_or_b32 exec_lo, exec_lo, s33
	s_delay_alu instid0(SALU_CYCLE_1)
	s_and_b32 s34, s34, exec_lo
	s_or_not1_b32 s33, s35, exec_lo
.LBB21_49:                              ;   in Loop: Header=BB21_51 Depth=3
	s_or_b32 exec_lo, exec_lo, s31
	s_wait_alu 0xfffe
	s_and_not1_b32 s26, s26, exec_lo
	s_and_b32 s31, s34, exec_lo
	s_and_not1_b32 s25, s25, exec_lo
	s_and_b32 s33, s33, exec_lo
	s_wait_alu 0xfffe
	s_or_b32 s26, s26, s31
	s_or_b32 s25, s25, s33
.LBB21_50:                              ;   in Loop: Header=BB21_51 Depth=3
	s_wait_alu 0xfffe
	s_or_b32 exec_lo, exec_lo, s27
	s_delay_alu instid0(SALU_CYCLE_1)
	s_and_b32 s27, exec_lo, s25
	s_wait_alu 0xfffe
	s_or_b32 s23, s27, s23
	s_and_not1_b32 s24, s24, exec_lo
	s_and_b32 s27, s26, exec_lo
	s_wait_alu 0xfffe
	s_or_b32 s24, s24, s27
	s_and_not1_b32 exec_lo, exec_lo, s23
	s_cbranch_execz .LBB21_60
.LBB21_51:                              ;   Parent Loop BB21_36 Depth=1
                                        ;     Parent Loop BB21_42 Depth=2
                                        ; =>    This Inner Loop Header: Depth=3
	s_delay_alu instid0(VALU_DEP_1) | instskip(SKIP_3) | instid1(VALU_DEP_1)
	v_and_b32_e32 v16, 0x7f, v17
	s_or_b32 s26, s26, exec_lo
	s_or_b32 s25, s25, exec_lo
	s_mov_b32 s27, exec_lo
	v_lshl_add_u32 v22, v16, 2, v19
	ds_load_b32 v22, v22
	s_wait_dscnt 0x0
	v_cmpx_ne_u32_e32 -1, v22
	s_cbranch_execz .LBB21_50
; %bb.52:                               ;   in Loop: Header=BB21_51 Depth=3
	s_mov_b32 s33, -1
	s_mov_b32 s34, 0
	s_mov_b32 s31, exec_lo
	v_cmpx_ne_u32_e64 v22, v14
	s_cbranch_execz .LBB21_49
; %bb.53:                               ;   in Loop: Header=BB21_51 Depth=3
	v_add_nc_u32_e32 v16, 1, v17
	s_mov_b32 s35, -1
	s_mov_b32 s34, -1
	s_mov_b32 s33, exec_lo
	s_delay_alu instid0(VALU_DEP_1) | instskip(NEXT) | instid1(VALU_DEP_1)
	v_and_b32_e32 v16, 0x7f, v16
	v_lshl_add_u32 v22, v16, 2, v19
	ds_load_b32 v22, v22
	s_wait_dscnt 0x0
	v_cmpx_ne_u32_e32 -1, v22
	s_cbranch_execz .LBB21_48
; %bb.54:                               ;   in Loop: Header=BB21_51 Depth=3
	s_mov_b32 s36, 0
	s_mov_b32 s34, exec_lo
	v_cmpx_ne_u32_e64 v22, v14
	s_cbranch_execz .LBB21_47
; %bb.55:                               ;   in Loop: Header=BB21_51 Depth=3
	v_add_nc_u32_e32 v16, 2, v17
	s_mov_b32 s37, -1
	s_mov_b32 s36, -1
	s_mov_b32 s35, exec_lo
	s_delay_alu instid0(VALU_DEP_1) | instskip(NEXT) | instid1(VALU_DEP_1)
	v_and_b32_e32 v16, 0x7f, v16
	v_lshl_add_u32 v22, v16, 2, v19
	ds_load_b32 v22, v22
	s_wait_dscnt 0x0
	v_cmpx_ne_u32_e32 -1, v22
	s_cbranch_execz .LBB21_46
; %bb.56:                               ;   in Loop: Header=BB21_51 Depth=3
	s_mov_b32 s38, 0
	s_mov_b32 s36, exec_lo
	v_cmpx_ne_u32_e64 v22, v14
	s_cbranch_execz .LBB21_45
; %bb.57:                               ;   in Loop: Header=BB21_51 Depth=3
	v_add_nc_u32_e32 v16, 3, v17
	s_mov_b32 s39, -1
	s_mov_b32 s38, -1
	s_mov_b32 s37, exec_lo
	s_delay_alu instid0(VALU_DEP_1) | instskip(NEXT) | instid1(VALU_DEP_1)
	v_and_b32_e32 v16, 0x7f, v16
	v_lshl_add_u32 v17, v16, 2, v19
	ds_load_b32 v22, v17
                                        ; implicit-def: $vgpr17
	s_wait_dscnt 0x0
	v_cmpx_ne_u32_e32 -1, v22
	s_cbranch_execz .LBB21_44
; %bb.58:                               ;   in Loop: Header=BB21_51 Depth=3
	s_mov_b32 s38, 0
	s_mov_b32 s40, exec_lo
                                        ; implicit-def: $vgpr17
	v_cmpx_ne_u32_e64 v22, v14
	s_cbranch_execz .LBB21_43
; %bb.59:                               ;   in Loop: Header=BB21_51 Depth=3
	v_add_nc_u32_e32 v15, -4, v15
	v_add_nc_u32_e32 v17, 1, v16
	s_mov_b32 s38, exec_lo
	s_delay_alu instid0(VALU_DEP_2)
	v_cmp_eq_u32_e32 vcc_lo, 0, v15
	s_or_not1_b32 s39, vcc_lo, exec_lo
	s_branch .LBB21_43
.LBB21_60:                              ;   in Loop: Header=BB21_42 Depth=2
	s_or_b32 exec_lo, exec_lo, s23
	s_wait_alu 0xfffe
	s_xor_b32 s23, s24, -1
	s_delay_alu instid0(SALU_CYCLE_1)
	s_and_saveexec_b32 s24, s23
	s_wait_alu 0xfffe
	s_xor_b32 s23, exec_lo, s24
	s_cbranch_execz .LBB21_41
; %bb.61:                               ;   in Loop: Header=BB21_42 Depth=2
	v_lshl_add_u32 v14, v16, 2, v0
	v_lshlrev_b64_e32 v[16:17], 3, v[12:13]
	ds_load_b32 v14, v14
	s_wait_dscnt 0x0
	v_ashrrev_i32_e32 v15, 31, v14
	s_delay_alu instid0(VALU_DEP_1) | instskip(SKIP_3) | instid1(VALU_DEP_3)
	v_lshlrev_b64_e32 v[13:14], 3, v[14:15]
	v_add_co_u32 v15, vcc_lo, s8, v16
	s_wait_alu 0xfffd
	v_add_co_ci_u32_e64 v16, null, s9, v17, vcc_lo
	v_add_co_u32 v13, vcc_lo, s8, v13
	s_wait_alu 0xfffd
	v_add_co_ci_u32_e64 v14, null, s9, v14, vcc_lo
	s_clause 0x1
	global_load_b64 v[15:16], v[15:16], off
	global_load_b64 v[22:23], v[13:14], off
	s_wait_loadcnt 0x0
	v_fma_f64 v[15:16], -v[10:11], v[15:16], v[22:23]
	global_store_b64 v[13:14], v[15:16], off
	s_branch .LBB21_41
.LBB21_62:
	s_wait_alu 0xfffe
	s_or_b32 exec_lo, exec_lo, s2
	s_mov_b32 s4, -1
	s_mov_b32 s3, exec_lo
	s_wait_loadcnt 0x0
	s_wait_storecnt 0x0
	global_inv scope:SCOPE_SE
	v_cmpx_lt_i32_e32 -1, v8
	s_cbranch_execz .LBB21_78
; %bb.63:
	v_mov_b32_e32 v9, 0
	v_cmp_eq_u32_e64 s2, 0, v18
	s_delay_alu instid0(VALU_DEP_2) | instskip(NEXT) | instid1(VALU_DEP_1)
	v_lshlrev_b64_e32 v[8:9], 3, v[8:9]
	v_add_co_u32 v12, vcc_lo, s8, v8
	s_wait_alu 0xfffd
	s_delay_alu instid0(VALU_DEP_2)
	v_add_co_ci_u32_e64 v13, null, s9, v9, vcc_lo
	global_load_b64 v[8:9], v[12:13], off
	s_wait_loadcnt 0x0
	v_cmp_gt_f64_e32 vcc_lo, 0, v[8:9]
	v_xor_b32_e32 v0, 0x80000000, v9
	s_wait_alu 0xfffd
	s_delay_alu instid0(VALU_DEP_1)
	v_dual_mov_b32 v10, v8 :: v_dual_cndmask_b32 v11, v9, v0
	s_and_not1_b32 vcc_lo, exec_lo, s29
	s_wait_alu 0xfffe
	s_cbranch_vccnz .LBB21_67
; %bb.64:
	v_cvt_f64_f32_e32 v[14:15], s30
	s_cmp_eq_u64 s[20:21], 8
	s_cselect_b32 vcc_lo, -1, 0
	s_wait_alu 0xfffe
	s_delay_alu instid0(VALU_DEP_1) | instskip(NEXT) | instid1(VALU_DEP_1)
	v_dual_cndmask_b32 v4, v15, v4 :: v_dual_cndmask_b32 v3, v14, v3
	v_cmp_le_f64_e32 vcc_lo, v[10:11], v[3:4]
	s_and_b32 s5, s2, vcc_lo
	s_wait_alu 0xfffe
	s_and_saveexec_b32 s4, s5
	s_cbranch_execz .LBB21_66
; %bb.65:
	global_store_b64 v[12:13], v[5:6], off
	s_wait_storecnt 0x0
	global_inv scope:SCOPE_DEV
.LBB21_66:
	s_wait_alu 0xfffe
	s_or_b32 exec_lo, exec_lo, s4
	s_mov_b32 s4, 0
.LBB21_67:
	s_wait_alu 0xfffe
	s_and_not1_b32 vcc_lo, exec_lo, s4
	s_wait_alu 0xfffe
	s_cbranch_vccnz .LBB21_78
; %bb.68:
	s_load_b64 s[0:1], s[0:1], 0x48
	v_add_nc_u32_e32 v0, s28, v7
	s_wait_kmcnt 0x0
	v_cmp_ge_f64_e32 vcc_lo, s[0:1], v[10:11]
	s_and_b32 s1, s2, vcc_lo
	s_wait_alu 0xfffe
	s_and_saveexec_b32 s0, s1
	s_cbranch_execz .LBB21_73
; %bb.69:
	s_mov_b32 s4, exec_lo
	s_brev_b32 s1, -2
.LBB21_70:                              ; =>This Inner Loop Header: Depth=1
	s_wait_alu 0xfffe
	s_ctz_i32_b32 s5, s4
	s_wait_alu 0xfffe
	v_readlane_b32 s6, v0, s5
	s_lshl_b32 s5, 1, s5
	s_wait_alu 0xfffe
	s_and_not1_b32 s4, s4, s5
	s_min_i32 s1, s1, s6
	s_wait_alu 0xfffe
	s_cmp_lg_u32 s4, 0
	s_cbranch_scc1 .LBB21_70
; %bb.71:
	v_mbcnt_lo_u32_b32 v3, exec_lo, 0
	s_mov_b32 s4, exec_lo
	s_delay_alu instid0(VALU_DEP_1)
	v_cmpx_eq_u32_e32 0, v3
	s_wait_alu 0xfffe
	s_xor_b32 s4, exec_lo, s4
	s_cbranch_execz .LBB21_73
; %bb.72:
	v_dual_mov_b32 v3, 0 :: v_dual_mov_b32 v4, s1
	global_atomic_min_i32 v3, v4, s[18:19] scope:SCOPE_DEV
.LBB21_73:
	s_wait_alu 0xfffe
	s_or_b32 exec_lo, exec_lo, s0
	v_cmp_eq_f64_e32 vcc_lo, 0, v[8:9]
	s_and_b32 s0, s2, vcc_lo
	s_wait_alu 0xfffe
	s_and_b32 exec_lo, exec_lo, s0
	s_cbranch_execz .LBB21_78
; %bb.74:
	s_mov_b32 s1, exec_lo
	s_brev_b32 s0, -2
.LBB21_75:                              ; =>This Inner Loop Header: Depth=1
	s_wait_alu 0xfffe
	s_ctz_i32_b32 s2, s1
	s_wait_alu 0xfffe
	v_readlane_b32 s4, v0, s2
	s_lshl_b32 s2, 1, s2
	s_wait_alu 0xfffe
	s_and_not1_b32 s1, s1, s2
	s_min_i32 s0, s0, s4
	s_wait_alu 0xfffe
	s_cmp_lg_u32 s1, 0
	s_cbranch_scc1 .LBB21_75
; %bb.76:
	v_mbcnt_lo_u32_b32 v0, exec_lo, 0
	s_mov_b32 s1, exec_lo
	s_delay_alu instid0(VALU_DEP_1)
	v_cmpx_eq_u32_e32 0, v0
	s_wait_alu 0xfffe
	s_xor_b32 s1, exec_lo, s1
	s_cbranch_execz .LBB21_78
; %bb.77:
	v_dual_mov_b32 v0, 0 :: v_dual_mov_b32 v3, s0
	global_atomic_min_i32 v0, v3, s[16:17] scope:SCOPE_DEV
.LBB21_78:
	s_wait_alu 0xfffe
	s_or_b32 exec_lo, exec_lo, s3
	v_cmp_eq_u32_e32 vcc_lo, 0, v18
	s_wait_loadcnt 0x0
	s_wait_storecnt 0x0
	global_inv scope:SCOPE_DEV
	s_and_b32 exec_lo, exec_lo, vcc_lo
	s_cbranch_execz .LBB21_80
; %bb.79:
	v_add_co_u32 v0, vcc_lo, s12, v1
	s_wait_alu 0xfffd
	v_add_co_ci_u32_e64 v1, null, s13, v2, vcc_lo
	v_mov_b32_e32 v2, 1
	s_wait_loadcnt 0x0
	global_store_b32 v[0:1], v2, off scope:SCOPE_DEV
.LBB21_80:
	s_endpgm
	.section	.rodata,"a",@progbits
	.p2align	6, 0x0
	.amdhsa_kernel _ZN9rocsparseL12csrilu0_hashILj256ELj64ELj2EdEEviPKiS2_PT2_S2_PiS2_S5_S5_d21rocsparse_index_base_imNS_24const_host_device_scalarIfEENS7_IdEENS7_IS3_EEb
		.amdhsa_group_segment_fixed_size 4096
		.amdhsa_private_segment_fixed_size 0
		.amdhsa_kernarg_size 124
		.amdhsa_user_sgpr_count 2
		.amdhsa_user_sgpr_dispatch_ptr 0
		.amdhsa_user_sgpr_queue_ptr 0
		.amdhsa_user_sgpr_kernarg_segment_ptr 1
		.amdhsa_user_sgpr_dispatch_id 0
		.amdhsa_user_sgpr_private_segment_size 0
		.amdhsa_wavefront_size32 1
		.amdhsa_uses_dynamic_stack 0
		.amdhsa_enable_private_segment 0
		.amdhsa_system_sgpr_workgroup_id_x 1
		.amdhsa_system_sgpr_workgroup_id_y 0
		.amdhsa_system_sgpr_workgroup_id_z 0
		.amdhsa_system_sgpr_workgroup_info 0
		.amdhsa_system_vgpr_workitem_id 0
		.amdhsa_next_free_vgpr 30
		.amdhsa_next_free_sgpr 41
		.amdhsa_reserve_vcc 1
		.amdhsa_float_round_mode_32 0
		.amdhsa_float_round_mode_16_64 0
		.amdhsa_float_denorm_mode_32 3
		.amdhsa_float_denorm_mode_16_64 3
		.amdhsa_fp16_overflow 0
		.amdhsa_workgroup_processor_mode 1
		.amdhsa_memory_ordered 1
		.amdhsa_forward_progress 1
		.amdhsa_inst_pref_size 26
		.amdhsa_round_robin_scheduling 0
		.amdhsa_exception_fp_ieee_invalid_op 0
		.amdhsa_exception_fp_denorm_src 0
		.amdhsa_exception_fp_ieee_div_zero 0
		.amdhsa_exception_fp_ieee_overflow 0
		.amdhsa_exception_fp_ieee_underflow 0
		.amdhsa_exception_fp_ieee_inexact 0
		.amdhsa_exception_int_div_zero 0
	.end_amdhsa_kernel
	.section	.text._ZN9rocsparseL12csrilu0_hashILj256ELj64ELj2EdEEviPKiS2_PT2_S2_PiS2_S5_S5_d21rocsparse_index_base_imNS_24const_host_device_scalarIfEENS7_IdEENS7_IS3_EEb,"axG",@progbits,_ZN9rocsparseL12csrilu0_hashILj256ELj64ELj2EdEEviPKiS2_PT2_S2_PiS2_S5_S5_d21rocsparse_index_base_imNS_24const_host_device_scalarIfEENS7_IdEENS7_IS3_EEb,comdat
.Lfunc_end21:
	.size	_ZN9rocsparseL12csrilu0_hashILj256ELj64ELj2EdEEviPKiS2_PT2_S2_PiS2_S5_S5_d21rocsparse_index_base_imNS_24const_host_device_scalarIfEENS7_IdEENS7_IS3_EEb, .Lfunc_end21-_ZN9rocsparseL12csrilu0_hashILj256ELj64ELj2EdEEviPKiS2_PT2_S2_PiS2_S5_S5_d21rocsparse_index_base_imNS_24const_host_device_scalarIfEENS7_IdEENS7_IS3_EEb
                                        ; -- End function
	.set _ZN9rocsparseL12csrilu0_hashILj256ELj64ELj2EdEEviPKiS2_PT2_S2_PiS2_S5_S5_d21rocsparse_index_base_imNS_24const_host_device_scalarIfEENS7_IdEENS7_IS3_EEb.num_vgpr, 30
	.set _ZN9rocsparseL12csrilu0_hashILj256ELj64ELj2EdEEviPKiS2_PT2_S2_PiS2_S5_S5_d21rocsparse_index_base_imNS_24const_host_device_scalarIfEENS7_IdEENS7_IS3_EEb.num_agpr, 0
	.set _ZN9rocsparseL12csrilu0_hashILj256ELj64ELj2EdEEviPKiS2_PT2_S2_PiS2_S5_S5_d21rocsparse_index_base_imNS_24const_host_device_scalarIfEENS7_IdEENS7_IS3_EEb.numbered_sgpr, 41
	.set _ZN9rocsparseL12csrilu0_hashILj256ELj64ELj2EdEEviPKiS2_PT2_S2_PiS2_S5_S5_d21rocsparse_index_base_imNS_24const_host_device_scalarIfEENS7_IdEENS7_IS3_EEb.num_named_barrier, 0
	.set _ZN9rocsparseL12csrilu0_hashILj256ELj64ELj2EdEEviPKiS2_PT2_S2_PiS2_S5_S5_d21rocsparse_index_base_imNS_24const_host_device_scalarIfEENS7_IdEENS7_IS3_EEb.private_seg_size, 0
	.set _ZN9rocsparseL12csrilu0_hashILj256ELj64ELj2EdEEviPKiS2_PT2_S2_PiS2_S5_S5_d21rocsparse_index_base_imNS_24const_host_device_scalarIfEENS7_IdEENS7_IS3_EEb.uses_vcc, 1
	.set _ZN9rocsparseL12csrilu0_hashILj256ELj64ELj2EdEEviPKiS2_PT2_S2_PiS2_S5_S5_d21rocsparse_index_base_imNS_24const_host_device_scalarIfEENS7_IdEENS7_IS3_EEb.uses_flat_scratch, 0
	.set _ZN9rocsparseL12csrilu0_hashILj256ELj64ELj2EdEEviPKiS2_PT2_S2_PiS2_S5_S5_d21rocsparse_index_base_imNS_24const_host_device_scalarIfEENS7_IdEENS7_IS3_EEb.has_dyn_sized_stack, 0
	.set _ZN9rocsparseL12csrilu0_hashILj256ELj64ELj2EdEEviPKiS2_PT2_S2_PiS2_S5_S5_d21rocsparse_index_base_imNS_24const_host_device_scalarIfEENS7_IdEENS7_IS3_EEb.has_recursion, 0
	.set _ZN9rocsparseL12csrilu0_hashILj256ELj64ELj2EdEEviPKiS2_PT2_S2_PiS2_S5_S5_d21rocsparse_index_base_imNS_24const_host_device_scalarIfEENS7_IdEENS7_IS3_EEb.has_indirect_call, 0
	.section	.AMDGPU.csdata,"",@progbits
; Kernel info:
; codeLenInByte = 3272
; TotalNumSgprs: 43
; NumVgprs: 30
; ScratchSize: 0
; MemoryBound: 0
; FloatMode: 240
; IeeeMode: 1
; LDSByteSize: 4096 bytes/workgroup (compile time only)
; SGPRBlocks: 0
; VGPRBlocks: 3
; NumSGPRsForWavesPerEU: 43
; NumVGPRsForWavesPerEU: 30
; Occupancy: 16
; WaveLimiterHint : 1
; COMPUTE_PGM_RSRC2:SCRATCH_EN: 0
; COMPUTE_PGM_RSRC2:USER_SGPR: 2
; COMPUTE_PGM_RSRC2:TRAP_HANDLER: 0
; COMPUTE_PGM_RSRC2:TGID_X_EN: 1
; COMPUTE_PGM_RSRC2:TGID_Y_EN: 0
; COMPUTE_PGM_RSRC2:TGID_Z_EN: 0
; COMPUTE_PGM_RSRC2:TIDIG_COMP_CNT: 0
	.section	.text._ZN9rocsparseL12csrilu0_hashILj256ELj64ELj4EdEEviPKiS2_PT2_S2_PiS2_S5_S5_d21rocsparse_index_base_imNS_24const_host_device_scalarIfEENS7_IdEENS7_IS3_EEb,"axG",@progbits,_ZN9rocsparseL12csrilu0_hashILj256ELj64ELj4EdEEviPKiS2_PT2_S2_PiS2_S5_S5_d21rocsparse_index_base_imNS_24const_host_device_scalarIfEENS7_IdEENS7_IS3_EEb,comdat
	.globl	_ZN9rocsparseL12csrilu0_hashILj256ELj64ELj4EdEEviPKiS2_PT2_S2_PiS2_S5_S5_d21rocsparse_index_base_imNS_24const_host_device_scalarIfEENS7_IdEENS7_IS3_EEb ; -- Begin function _ZN9rocsparseL12csrilu0_hashILj256ELj64ELj4EdEEviPKiS2_PT2_S2_PiS2_S5_S5_d21rocsparse_index_base_imNS_24const_host_device_scalarIfEENS7_IdEENS7_IS3_EEb
	.p2align	8
	.type	_ZN9rocsparseL12csrilu0_hashILj256ELj64ELj4EdEEviPKiS2_PT2_S2_PiS2_S5_S5_d21rocsparse_index_base_imNS_24const_host_device_scalarIfEENS7_IdEENS7_IS3_EEb,@function
_ZN9rocsparseL12csrilu0_hashILj256ELj64ELj4EdEEviPKiS2_PT2_S2_PiS2_S5_S5_d21rocsparse_index_base_imNS_24const_host_device_scalarIfEENS7_IdEENS7_IS3_EEb: ; @_ZN9rocsparseL12csrilu0_hashILj256ELj64ELj4EdEEviPKiS2_PT2_S2_PiS2_S5_S5_d21rocsparse_index_base_imNS_24const_host_device_scalarIfEENS7_IdEENS7_IS3_EEb
; %bb.0:
	s_clause 0x2
	s_load_b32 s2, s[0:1], 0x78
	s_load_b64 s[28:29], s[0:1], 0x50
	s_load_b256 s[20:27], s[0:1], 0x58
	s_wait_kmcnt 0x0
	s_bitcmp1_b32 s2, 0
	s_cselect_b32 s2, -1, 0
	s_cmp_eq_u32 s29, 0
	s_cselect_b32 s4, -1, 0
	s_cmp_lg_u32 s29, 0
	s_cselect_b32 s29, -1, 0
	s_or_b32 s6, s4, s2
	s_delay_alu instid0(SALU_CYCLE_1)
	s_xor_b32 s5, s6, -1
	s_and_b32 s2, s4, exec_lo
	s_cselect_b32 s3, 0, s25
	s_cselect_b32 s2, 0, s24
	;; [unrolled: 1-line block ×3, first 2 shown]
	s_and_b32 vcc_lo, exec_lo, s6
	s_cbranch_vccnz .LBB22_2
; %bb.1:
	s_load_b32 s30, s[22:23], 0x0
	s_mov_b64 s[2:3], s[24:25]
.LBB22_2:
	v_cndmask_b32_e64 v1, 0, 1, s5
	v_dual_mov_b32 v4, s3 :: v_dual_mov_b32 v3, s2
	s_and_not1_b32 vcc_lo, exec_lo, s5
	s_cbranch_vccnz .LBB22_4
; %bb.3:
	v_dual_mov_b32 v2, s24 :: v_dual_mov_b32 v3, s25
	flat_load_b64 v[3:4], v[2:3]
.LBB22_4:
	s_and_b32 s2, s4, exec_lo
	s_cselect_b32 s3, 0, s27
	v_cmp_ne_u32_e32 vcc_lo, 1, v1
	s_cselect_b32 s2, 0, s26
	s_wait_alu 0xfffe
	v_dual_mov_b32 v6, s3 :: v_dual_mov_b32 v5, s2
	s_mov_b32 s2, 0
	s_cbranch_vccnz .LBB22_6
; %bb.5:
	v_dual_mov_b32 v1, s26 :: v_dual_mov_b32 v2, s27
	flat_load_b64 v[5:6], v[1:2]
.LBB22_6:
	v_lshrrev_b32_e32 v1, 6, v0
	v_and_b32_e32 v18, 63, v0
	s_delay_alu instid0(VALU_DEP_2) | instskip(NEXT) | instid1(VALU_DEP_2)
	v_lshlrev_b32_e32 v7, 10, v1
	v_lshlrev_b32_e32 v8, 2, v18
	v_or_b32_e32 v2, 0xffffffc0, v18
	s_delay_alu instid0(VALU_DEP_2)
	v_or3_b32 v7, v7, v8, 0x1000
	v_mov_b32_e32 v8, -1
.LBB22_7:                               ; =>This Inner Loop Header: Depth=1
	s_delay_alu instid0(VALU_DEP_3)
	v_add_nc_u32_e32 v2, 64, v2
	ds_store_b32 v7, v8
	v_add_nc_u32_e32 v7, 0x100, v7
	v_cmp_lt_u32_e32 vcc_lo, 0xbf, v2
	s_wait_alu 0xfffe
	s_or_b32 s2, vcc_lo, s2
	s_wait_alu 0xfffe
	s_and_not1_b32 exec_lo, exec_lo, s2
	s_cbranch_execnz .LBB22_7
; %bb.8:
	s_or_b32 exec_lo, exec_lo, s2
	s_load_b32 s2, s[0:1], 0x0
	s_lshl_b32 s3, ttmp9, 2
	s_wait_loadcnt_dscnt 0x0
	global_inv scope:SCOPE_SE
	s_wait_alu 0xfffe
	v_and_or_b32 v1, 0x3fffffc, s3, v1
	s_wait_kmcnt 0x0
	s_delay_alu instid0(VALU_DEP_1)
	v_cmp_gt_i32_e32 vcc_lo, s2, v1
	s_and_saveexec_b32 s2, vcc_lo
	s_cbranch_execz .LBB22_80
; %bb.9:
	s_load_b512 s[4:19], s[0:1], 0x8
	v_lshlrev_b32_e32 v1, 2, v1
	v_lshlrev_b32_e32 v0, 4, v0
	s_mov_b32 s2, exec_lo
	s_delay_alu instid0(VALU_DEP_1) | instskip(NEXT) | instid1(VALU_DEP_1)
	v_and_b32_e32 v0, 0xc00, v0
	v_or_b32_e32 v19, 0x1000, v0
	s_wait_kmcnt 0x0
	global_load_b32 v7, v1, s[14:15]
	s_wait_loadcnt 0x0
	v_ashrrev_i32_e32 v8, 31, v7
	s_delay_alu instid0(VALU_DEP_1) | instskip(NEXT) | instid1(VALU_DEP_1)
	v_lshlrev_b64_e32 v[1:2], 2, v[7:8]
	v_add_co_u32 v8, vcc_lo, s4, v1
	s_delay_alu instid0(VALU_DEP_1)
	v_add_co_ci_u32_e64 v9, null, s5, v2, vcc_lo
	v_add_co_u32 v11, vcc_lo, s10, v1
	s_wait_alu 0xfffd
	v_add_co_ci_u32_e64 v12, null, s11, v2, vcc_lo
	global_load_b64 v[9:10], v[8:9], off
	global_load_b32 v8, v[11:12], off
	s_wait_loadcnt 0x1
	v_subrev_nc_u32_e32 v9, s28, v9
	v_subrev_nc_u32_e32 v12, s28, v10
	s_delay_alu instid0(VALU_DEP_2) | instskip(NEXT) | instid1(VALU_DEP_1)
	v_add_nc_u32_e32 v10, v9, v18
	v_cmpx_lt_i32_e64 v10, v12
	s_cbranch_execz .LBB22_32
; %bb.10:
	v_mov_b32_e32 v13, -1
	s_mov_b32 s3, 0
	s_branch .LBB22_12
.LBB22_11:                              ;   in Loop: Header=BB22_12 Depth=1
	s_or_b32 exec_lo, exec_lo, s14
	v_add_nc_u32_e32 v10, 64, v10
	s_delay_alu instid0(VALU_DEP_1)
	v_cmp_ge_i32_e32 vcc_lo, v10, v12
	s_or_b32 s3, vcc_lo, s3
	s_wait_alu 0xfffe
	s_and_not1_b32 exec_lo, exec_lo, s3
	s_cbranch_execz .LBB22_32
.LBB22_12:                              ; =>This Loop Header: Depth=1
                                        ;     Child Loop BB22_21 Depth 2
	v_ashrrev_i32_e32 v11, 31, v10
	s_mov_b32 s14, 0
                                        ; implicit-def: $sgpr15
                                        ; implicit-def: $sgpr22
                                        ; implicit-def: $sgpr23
	s_delay_alu instid0(VALU_DEP_1) | instskip(NEXT) | instid1(VALU_DEP_1)
	v_lshlrev_b64_e32 v[14:15], 2, v[10:11]
	v_add_co_u32 v14, vcc_lo, s6, v14
	s_wait_alu 0xfffd
	s_delay_alu instid0(VALU_DEP_2)
	v_add_co_ci_u32_e64 v15, null, s7, v15, vcc_lo
	global_load_b32 v11, v[14:15], off
	v_mov_b32_e32 v14, 0x100
	s_wait_loadcnt 0x0
	v_mul_lo_u32 v16, 0x67, v11
	s_branch .LBB22_21
.LBB22_13:                              ;   in Loop: Header=BB22_21 Depth=2
	s_or_b32 exec_lo, exec_lo, s37
	s_delay_alu instid0(SALU_CYCLE_1)
	s_or_not1_b32 s35, s35, exec_lo
	s_or_not1_b32 s36, s36, exec_lo
.LBB22_14:                              ;   in Loop: Header=BB22_21 Depth=2
	s_or_b32 exec_lo, exec_lo, s34
	s_delay_alu instid0(SALU_CYCLE_1)
	s_and_b32 s35, s35, exec_lo
	s_or_not1_b32 s34, s36, exec_lo
.LBB22_15:                              ;   in Loop: Header=BB22_21 Depth=2
	s_or_b32 exec_lo, exec_lo, s33
	s_delay_alu instid0(SALU_CYCLE_1)
	s_or_not1_b32 s33, s35, exec_lo
	s_or_not1_b32 s34, s34, exec_lo
.LBB22_16:                              ;   in Loop: Header=BB22_21 Depth=2
	s_or_b32 exec_lo, exec_lo, s31
	s_delay_alu instid0(SALU_CYCLE_1)
	s_and_b32 s33, s33, exec_lo
	s_or_not1_b32 s31, s34, exec_lo
.LBB22_17:                              ;   in Loop: Header=BB22_21 Depth=2
	s_wait_alu 0xfffe
	s_or_b32 exec_lo, exec_lo, s27
	s_delay_alu instid0(SALU_CYCLE_1)
	s_or_not1_b32 s27, s33, exec_lo
	s_or_not1_b32 s31, s31, exec_lo
.LBB22_18:                              ;   in Loop: Header=BB22_21 Depth=2
	s_wait_alu 0xfffe
	s_or_b32 exec_lo, exec_lo, s26
	s_delay_alu instid0(SALU_CYCLE_1)
	s_and_b32 s27, s27, exec_lo
	s_or_not1_b32 s26, s31, exec_lo
.LBB22_19:                              ;   in Loop: Header=BB22_21 Depth=2
	s_wait_alu 0xfffe
	s_or_b32 exec_lo, exec_lo, s25
	s_delay_alu instid0(SALU_CYCLE_1)
	s_and_not1_b32 s23, s23, exec_lo
	s_and_b32 s25, s27, exec_lo
	s_and_not1_b32 s22, s22, exec_lo
	s_and_b32 s26, s26, exec_lo
	s_wait_alu 0xfffe
	s_or_b32 s23, s23, s25
	s_or_b32 s22, s22, s26
.LBB22_20:                              ;   in Loop: Header=BB22_21 Depth=2
	s_wait_alu 0xfffe
	s_or_b32 exec_lo, exec_lo, s24
	s_delay_alu instid0(SALU_CYCLE_1)
	s_and_b32 s24, exec_lo, s22
	s_wait_alu 0xfffe
	s_or_b32 s14, s24, s14
	s_and_not1_b32 s15, s15, exec_lo
	s_and_b32 s24, s23, exec_lo
	s_wait_alu 0xfffe
	s_or_b32 s15, s15, s24
	s_and_not1_b32 exec_lo, exec_lo, s14
	s_cbranch_execz .LBB22_30
.LBB22_21:                              ;   Parent Loop BB22_12 Depth=1
                                        ; =>  This Inner Loop Header: Depth=2
	s_delay_alu instid0(VALU_DEP_1) | instskip(SKIP_3) | instid1(VALU_DEP_1)
	v_and_b32_e32 v15, 0xff, v16
	s_or_b32 s23, s23, exec_lo
	s_or_b32 s22, s22, exec_lo
	s_mov_b32 s24, exec_lo
	v_lshl_add_u32 v17, v15, 2, v19
	ds_load_b32 v20, v17
	s_wait_dscnt 0x0
	v_cmpx_ne_u32_e64 v20, v11
	s_cbranch_execz .LBB22_20
; %bb.22:                               ;   in Loop: Header=BB22_21 Depth=2
	ds_cmpstore_rtn_b32 v17, v17, v11, v13
	s_mov_b32 s26, -1
	s_mov_b32 s27, 0
	s_mov_b32 s25, exec_lo
	s_wait_dscnt 0x0
	v_cmpx_ne_u32_e32 -1, v17
	s_cbranch_execz .LBB22_19
; %bb.23:                               ;   in Loop: Header=BB22_21 Depth=2
	v_add_nc_u32_e32 v15, 1, v16
	s_mov_b32 s31, -1
	s_mov_b32 s27, -1
	s_mov_b32 s26, exec_lo
	s_delay_alu instid0(VALU_DEP_1) | instskip(NEXT) | instid1(VALU_DEP_1)
	v_and_b32_e32 v15, 0xff, v15
	v_lshl_add_u32 v17, v15, 2, v19
	ds_load_b32 v20, v17
	s_wait_dscnt 0x0
	v_cmpx_ne_u32_e64 v20, v11
	s_cbranch_execz .LBB22_18
; %bb.24:                               ;   in Loop: Header=BB22_21 Depth=2
	ds_cmpstore_rtn_b32 v17, v17, v11, v13
	s_mov_b32 s33, 0
	s_mov_b32 s27, exec_lo
	s_wait_dscnt 0x0
	v_cmpx_ne_u32_e32 -1, v17
	s_cbranch_execz .LBB22_17
; %bb.25:                               ;   in Loop: Header=BB22_21 Depth=2
	v_add_nc_u32_e32 v15, 2, v16
	s_mov_b32 s34, -1
	s_mov_b32 s33, -1
	s_mov_b32 s31, exec_lo
	s_delay_alu instid0(VALU_DEP_1) | instskip(NEXT) | instid1(VALU_DEP_1)
	v_and_b32_e32 v15, 0xff, v15
	v_lshl_add_u32 v17, v15, 2, v19
	ds_load_b32 v20, v17
	s_wait_dscnt 0x0
	v_cmpx_ne_u32_e64 v20, v11
	s_cbranch_execz .LBB22_16
; %bb.26:                               ;   in Loop: Header=BB22_21 Depth=2
	ds_cmpstore_rtn_b32 v17, v17, v11, v13
	s_mov_b32 s35, 0
	s_mov_b32 s33, exec_lo
	s_wait_dscnt 0x0
	v_cmpx_ne_u32_e32 -1, v17
	s_cbranch_execz .LBB22_15
; %bb.27:                               ;   in Loop: Header=BB22_21 Depth=2
	v_add_nc_u32_e32 v15, 3, v16
	s_mov_b32 s36, -1
	s_mov_b32 s35, -1
	s_delay_alu instid0(VALU_DEP_1) | instskip(NEXT) | instid1(VALU_DEP_1)
	v_and_b32_e32 v15, 0xff, v15
	v_lshl_add_u32 v17, v15, 2, v19
	ds_load_b32 v16, v17
	s_wait_dscnt 0x0
	v_cmp_ne_u32_e32 vcc_lo, v16, v11
                                        ; implicit-def: $vgpr16
	s_and_saveexec_b32 s34, vcc_lo
	s_cbranch_execz .LBB22_14
; %bb.28:                               ;   in Loop: Header=BB22_21 Depth=2
	ds_cmpstore_rtn_b32 v16, v17, v11, v13
	s_mov_b32 s35, 0
	s_wait_dscnt 0x0
	v_cmp_ne_u32_e32 vcc_lo, -1, v16
                                        ; implicit-def: $vgpr16
	s_and_saveexec_b32 s37, vcc_lo
	s_cbranch_execz .LBB22_13
; %bb.29:                               ;   in Loop: Header=BB22_21 Depth=2
	v_add_nc_u32_e32 v14, -4, v14
	v_add_nc_u32_e32 v16, 1, v15
	s_mov_b32 s35, exec_lo
	s_delay_alu instid0(VALU_DEP_2)
	v_cmp_eq_u32_e32 vcc_lo, 0, v14
	s_or_not1_b32 s36, vcc_lo, exec_lo
	s_branch .LBB22_13
.LBB22_30:                              ;   in Loop: Header=BB22_12 Depth=1
	s_or_b32 exec_lo, exec_lo, s14
	s_xor_b32 s14, s15, -1
	s_delay_alu instid0(SALU_CYCLE_1) | instskip(NEXT) | instid1(SALU_CYCLE_1)
	s_and_saveexec_b32 s15, s14
	s_xor_b32 s14, exec_lo, s15
	s_cbranch_execz .LBB22_11
; %bb.31:                               ;   in Loop: Header=BB22_12 Depth=1
	v_lshl_add_u32 v11, v15, 2, v0
	ds_store_b32 v11, v10
	s_branch .LBB22_11
.LBB22_32:
	s_wait_alu 0xfffe
	s_or_b32 exec_lo, exec_lo, s2
	s_delay_alu instid0(SALU_CYCLE_1)
	s_mov_b32 s2, exec_lo
	s_wait_loadcnt_dscnt 0x0
	global_inv scope:SCOPE_SE
	v_cmpx_lt_i32_e64 v9, v8
	s_cbranch_execz .LBB22_62
; %bb.33:
	v_add_nc_u32_e32 v20, 1, v18
	s_mov_b32 s3, 0
	s_branch .LBB22_36
.LBB22_34:                              ;   in Loop: Header=BB22_36 Depth=1
	s_or_b32 exec_lo, exec_lo, s15
	v_add_nc_u32_e32 v9, 1, v9
	s_delay_alu instid0(VALU_DEP_1)
	v_cmp_ge_i32_e32 vcc_lo, v9, v8
	s_or_not1_b32 s15, vcc_lo, exec_lo
.LBB22_35:                              ;   in Loop: Header=BB22_36 Depth=1
	s_or_b32 exec_lo, exec_lo, s14
	s_delay_alu instid0(SALU_CYCLE_1)
	s_and_b32 s14, exec_lo, s15
	s_wait_alu 0xfffe
	s_or_b32 s3, s14, s3
	s_wait_alu 0xfffe
	s_and_not1_b32 exec_lo, exec_lo, s3
	s_cbranch_execz .LBB22_62
.LBB22_36:                              ; =>This Loop Header: Depth=1
                                        ;     Child Loop BB22_37 Depth 2
                                        ;     Child Loop BB22_42 Depth 2
                                        ;       Child Loop BB22_51 Depth 3
	v_ashrrev_i32_e32 v10, 31, v9
	s_mov_b32 s14, 0
	s_delay_alu instid0(VALU_DEP_1) | instskip(SKIP_1) | instid1(VALU_DEP_2)
	v_lshlrev_b64_e32 v[11:12], 2, v[9:10]
	v_lshlrev_b64_e32 v[13:14], 3, v[9:10]
	v_add_co_u32 v11, vcc_lo, s6, v11
	s_wait_alu 0xfffd
	s_delay_alu instid0(VALU_DEP_3) | instskip(NEXT) | instid1(VALU_DEP_3)
	v_add_co_ci_u32_e64 v12, null, s7, v12, vcc_lo
	v_add_co_u32 v13, vcc_lo, s8, v13
	s_wait_alu 0xfffd
	v_add_co_ci_u32_e64 v14, null, s9, v14, vcc_lo
	global_load_b32 v11, v[11:12], off
	s_wait_loadcnt 0x0
	v_subrev_nc_u32_e32 v11, s28, v11
	s_delay_alu instid0(VALU_DEP_1) | instskip(NEXT) | instid1(VALU_DEP_1)
	v_ashrrev_i32_e32 v12, 31, v11
	v_lshlrev_b64_e32 v[15:16], 2, v[11:12]
	s_delay_alu instid0(VALU_DEP_1) | instskip(SKIP_1) | instid1(VALU_DEP_2)
	v_add_co_u32 v21, vcc_lo, s4, v15
	s_wait_alu 0xfffd
	v_add_co_ci_u32_e64 v22, null, s5, v16, vcc_lo
	v_add_co_u32 v23, vcc_lo, s10, v15
	s_wait_alu 0xfffd
	v_add_co_ci_u32_e64 v24, null, s11, v16, vcc_lo
	global_load_b64 v[10:11], v[13:14], off
	global_load_b32 v12, v[21:22], off offset:4
	global_load_b32 v17, v[23:24], off
	v_add_co_u32 v15, vcc_lo, s12, v15
	s_wait_alu 0xfffd
	v_add_co_ci_u32_e64 v16, null, s13, v16, vcc_lo
.LBB22_37:                              ;   Parent Loop BB22_36 Depth=1
                                        ; =>  This Inner Loop Header: Depth=2
	global_load_b32 v21, v[15:16], off scope:SCOPE_DEV
	s_wait_loadcnt 0x0
	v_cmp_ne_u32_e32 vcc_lo, 0, v21
	s_or_b32 s14, vcc_lo, s14
	s_delay_alu instid0(SALU_CYCLE_1)
	s_and_not1_b32 exec_lo, exec_lo, s14
	s_cbranch_execnz .LBB22_37
; %bb.38:                               ;   in Loop: Header=BB22_36 Depth=1
	s_or_b32 exec_lo, exec_lo, s14
	v_subrev_nc_u32_e32 v21, s28, v12
	v_cmp_eq_u32_e32 vcc_lo, -1, v17
	global_inv scope:SCOPE_DEV
	s_mov_b32 s15, -1
	s_mov_b32 s14, exec_lo
	v_add_nc_u32_e32 v12, -1, v21
	s_wait_alu 0xfffd
	s_delay_alu instid0(VALU_DEP_1) | instskip(NEXT) | instid1(VALU_DEP_1)
	v_cndmask_b32_e32 v15, v17, v12, vcc_lo
	v_ashrrev_i32_e32 v16, 31, v15
	s_delay_alu instid0(VALU_DEP_1) | instskip(NEXT) | instid1(VALU_DEP_1)
	v_lshlrev_b64_e32 v[16:17], 3, v[15:16]
	v_add_co_u32 v16, vcc_lo, s8, v16
	s_wait_alu 0xfffd
	s_delay_alu instid0(VALU_DEP_2)
	v_add_co_ci_u32_e64 v17, null, s9, v17, vcc_lo
	global_load_b64 v[16:17], v[16:17], off
	s_wait_loadcnt 0x0
	v_cmpx_neq_f64_e32 0, v[16:17]
	s_cbranch_execz .LBB22_35
; %bb.39:                               ;   in Loop: Header=BB22_36 Depth=1
	v_div_scale_f64 v[22:23], null, v[16:17], v[16:17], v[10:11]
	v_add_nc_u32_e32 v12, v20, v15
	s_mov_b32 s15, exec_lo
	s_delay_alu instid0(VALU_DEP_2) | instskip(NEXT) | instid1(TRANS32_DEP_1)
	v_rcp_f64_e32 v[24:25], v[22:23]
	v_fma_f64 v[26:27], -v[22:23], v[24:25], 1.0
	s_delay_alu instid0(VALU_DEP_1) | instskip(NEXT) | instid1(VALU_DEP_1)
	v_fma_f64 v[24:25], v[24:25], v[26:27], v[24:25]
	v_fma_f64 v[26:27], -v[22:23], v[24:25], 1.0
	s_delay_alu instid0(VALU_DEP_1) | instskip(SKIP_1) | instid1(VALU_DEP_1)
	v_fma_f64 v[24:25], v[24:25], v[26:27], v[24:25]
	v_div_scale_f64 v[26:27], vcc_lo, v[10:11], v[16:17], v[10:11]
	v_mul_f64_e32 v[28:29], v[26:27], v[24:25]
	s_delay_alu instid0(VALU_DEP_1) | instskip(SKIP_1) | instid1(VALU_DEP_1)
	v_fma_f64 v[22:23], -v[22:23], v[28:29], v[26:27]
	s_wait_alu 0xfffd
	v_div_fmas_f64 v[22:23], v[22:23], v[24:25], v[28:29]
	s_delay_alu instid0(VALU_DEP_1)
	v_div_fixup_f64 v[10:11], v[22:23], v[16:17], v[10:11]
	global_store_b64 v[13:14], v[10:11], off
	v_cmpx_lt_i32_e64 v12, v21
	s_cbranch_execz .LBB22_34
; %bb.40:                               ;   in Loop: Header=BB22_36 Depth=1
	s_mov_b32 s22, 0
	s_branch .LBB22_42
.LBB22_41:                              ;   in Loop: Header=BB22_42 Depth=2
	s_or_b32 exec_lo, exec_lo, s23
	v_add_nc_u32_e32 v12, 64, v12
	s_delay_alu instid0(VALU_DEP_1) | instskip(SKIP_1) | instid1(SALU_CYCLE_1)
	v_cmp_ge_i32_e32 vcc_lo, v12, v21
	s_or_b32 s22, vcc_lo, s22
	s_and_not1_b32 exec_lo, exec_lo, s22
	s_cbranch_execz .LBB22_34
.LBB22_42:                              ;   Parent Loop BB22_36 Depth=1
                                        ; =>  This Loop Header: Depth=2
                                        ;       Child Loop BB22_51 Depth 3
	v_ashrrev_i32_e32 v13, 31, v12
	s_mov_b32 s23, 0
                                        ; implicit-def: $sgpr24
                                        ; implicit-def: $sgpr25
                                        ; implicit-def: $sgpr26
	s_delay_alu instid0(VALU_DEP_1) | instskip(NEXT) | instid1(VALU_DEP_1)
	v_lshlrev_b64_e32 v[14:15], 2, v[12:13]
	v_add_co_u32 v14, vcc_lo, s6, v14
	s_wait_alu 0xfffd
	s_delay_alu instid0(VALU_DEP_2)
	v_add_co_ci_u32_e64 v15, null, s7, v15, vcc_lo
	global_load_b32 v14, v[14:15], off
	v_mov_b32_e32 v15, 0x100
	s_wait_loadcnt 0x0
	v_mul_lo_u32 v17, 0x67, v14
	s_branch .LBB22_51
.LBB22_43:                              ;   in Loop: Header=BB22_51 Depth=3
	s_or_b32 exec_lo, exec_lo, s40
	s_delay_alu instid0(SALU_CYCLE_1)
	s_or_not1_b32 s38, s38, exec_lo
	s_or_not1_b32 s39, s39, exec_lo
.LBB22_44:                              ;   in Loop: Header=BB22_51 Depth=3
	s_or_b32 exec_lo, exec_lo, s37
	s_delay_alu instid0(SALU_CYCLE_1)
	s_and_b32 s38, s38, exec_lo
	s_or_not1_b32 s37, s39, exec_lo
.LBB22_45:                              ;   in Loop: Header=BB22_51 Depth=3
	s_or_b32 exec_lo, exec_lo, s36
	s_delay_alu instid0(SALU_CYCLE_1)
	s_or_not1_b32 s36, s38, exec_lo
	s_or_not1_b32 s37, s37, exec_lo
.LBB22_46:                              ;   in Loop: Header=BB22_51 Depth=3
	s_or_b32 exec_lo, exec_lo, s35
	s_delay_alu instid0(SALU_CYCLE_1)
	s_and_b32 s36, s36, exec_lo
	s_or_not1_b32 s35, s37, exec_lo
.LBB22_47:                              ;   in Loop: Header=BB22_51 Depth=3
	s_or_b32 exec_lo, exec_lo, s34
	s_delay_alu instid0(SALU_CYCLE_1)
	s_or_not1_b32 s34, s36, exec_lo
	s_or_not1_b32 s35, s35, exec_lo
.LBB22_48:                              ;   in Loop: Header=BB22_51 Depth=3
	s_or_b32 exec_lo, exec_lo, s33
	s_delay_alu instid0(SALU_CYCLE_1)
	s_and_b32 s34, s34, exec_lo
	s_or_not1_b32 s33, s35, exec_lo
.LBB22_49:                              ;   in Loop: Header=BB22_51 Depth=3
	s_or_b32 exec_lo, exec_lo, s31
	s_wait_alu 0xfffe
	s_and_not1_b32 s26, s26, exec_lo
	s_and_b32 s31, s34, exec_lo
	s_and_not1_b32 s25, s25, exec_lo
	s_and_b32 s33, s33, exec_lo
	s_wait_alu 0xfffe
	s_or_b32 s26, s26, s31
	s_or_b32 s25, s25, s33
.LBB22_50:                              ;   in Loop: Header=BB22_51 Depth=3
	s_wait_alu 0xfffe
	s_or_b32 exec_lo, exec_lo, s27
	s_delay_alu instid0(SALU_CYCLE_1)
	s_and_b32 s27, exec_lo, s25
	s_wait_alu 0xfffe
	s_or_b32 s23, s27, s23
	s_and_not1_b32 s24, s24, exec_lo
	s_and_b32 s27, s26, exec_lo
	s_wait_alu 0xfffe
	s_or_b32 s24, s24, s27
	s_and_not1_b32 exec_lo, exec_lo, s23
	s_cbranch_execz .LBB22_60
.LBB22_51:                              ;   Parent Loop BB22_36 Depth=1
                                        ;     Parent Loop BB22_42 Depth=2
                                        ; =>    This Inner Loop Header: Depth=3
	s_delay_alu instid0(VALU_DEP_1) | instskip(SKIP_3) | instid1(VALU_DEP_1)
	v_and_b32_e32 v16, 0xff, v17
	s_or_b32 s26, s26, exec_lo
	s_or_b32 s25, s25, exec_lo
	s_mov_b32 s27, exec_lo
	v_lshl_add_u32 v22, v16, 2, v19
	ds_load_b32 v22, v22
	s_wait_dscnt 0x0
	v_cmpx_ne_u32_e32 -1, v22
	s_cbranch_execz .LBB22_50
; %bb.52:                               ;   in Loop: Header=BB22_51 Depth=3
	s_mov_b32 s33, -1
	s_mov_b32 s34, 0
	s_mov_b32 s31, exec_lo
	v_cmpx_ne_u32_e64 v22, v14
	s_cbranch_execz .LBB22_49
; %bb.53:                               ;   in Loop: Header=BB22_51 Depth=3
	v_add_nc_u32_e32 v16, 1, v17
	s_mov_b32 s35, -1
	s_mov_b32 s34, -1
	s_mov_b32 s33, exec_lo
	s_delay_alu instid0(VALU_DEP_1) | instskip(NEXT) | instid1(VALU_DEP_1)
	v_and_b32_e32 v16, 0xff, v16
	v_lshl_add_u32 v22, v16, 2, v19
	ds_load_b32 v22, v22
	s_wait_dscnt 0x0
	v_cmpx_ne_u32_e32 -1, v22
	s_cbranch_execz .LBB22_48
; %bb.54:                               ;   in Loop: Header=BB22_51 Depth=3
	s_mov_b32 s36, 0
	s_mov_b32 s34, exec_lo
	v_cmpx_ne_u32_e64 v22, v14
	s_cbranch_execz .LBB22_47
; %bb.55:                               ;   in Loop: Header=BB22_51 Depth=3
	v_add_nc_u32_e32 v16, 2, v17
	s_mov_b32 s37, -1
	s_mov_b32 s36, -1
	s_mov_b32 s35, exec_lo
	s_delay_alu instid0(VALU_DEP_1) | instskip(NEXT) | instid1(VALU_DEP_1)
	v_and_b32_e32 v16, 0xff, v16
	v_lshl_add_u32 v22, v16, 2, v19
	ds_load_b32 v22, v22
	s_wait_dscnt 0x0
	v_cmpx_ne_u32_e32 -1, v22
	s_cbranch_execz .LBB22_46
; %bb.56:                               ;   in Loop: Header=BB22_51 Depth=3
	s_mov_b32 s38, 0
	s_mov_b32 s36, exec_lo
	v_cmpx_ne_u32_e64 v22, v14
	s_cbranch_execz .LBB22_45
; %bb.57:                               ;   in Loop: Header=BB22_51 Depth=3
	v_add_nc_u32_e32 v16, 3, v17
	s_mov_b32 s39, -1
	s_mov_b32 s38, -1
	s_mov_b32 s37, exec_lo
	s_delay_alu instid0(VALU_DEP_1) | instskip(NEXT) | instid1(VALU_DEP_1)
	v_and_b32_e32 v16, 0xff, v16
	v_lshl_add_u32 v17, v16, 2, v19
	ds_load_b32 v22, v17
                                        ; implicit-def: $vgpr17
	s_wait_dscnt 0x0
	v_cmpx_ne_u32_e32 -1, v22
	s_cbranch_execz .LBB22_44
; %bb.58:                               ;   in Loop: Header=BB22_51 Depth=3
	s_mov_b32 s38, 0
	s_mov_b32 s40, exec_lo
                                        ; implicit-def: $vgpr17
	v_cmpx_ne_u32_e64 v22, v14
	s_cbranch_execz .LBB22_43
; %bb.59:                               ;   in Loop: Header=BB22_51 Depth=3
	v_add_nc_u32_e32 v15, -4, v15
	v_add_nc_u32_e32 v17, 1, v16
	s_mov_b32 s38, exec_lo
	s_delay_alu instid0(VALU_DEP_2)
	v_cmp_eq_u32_e32 vcc_lo, 0, v15
	s_or_not1_b32 s39, vcc_lo, exec_lo
	s_branch .LBB22_43
.LBB22_60:                              ;   in Loop: Header=BB22_42 Depth=2
	s_or_b32 exec_lo, exec_lo, s23
	s_wait_alu 0xfffe
	s_xor_b32 s23, s24, -1
	s_delay_alu instid0(SALU_CYCLE_1)
	s_and_saveexec_b32 s24, s23
	s_wait_alu 0xfffe
	s_xor_b32 s23, exec_lo, s24
	s_cbranch_execz .LBB22_41
; %bb.61:                               ;   in Loop: Header=BB22_42 Depth=2
	v_lshl_add_u32 v14, v16, 2, v0
	v_lshlrev_b64_e32 v[16:17], 3, v[12:13]
	ds_load_b32 v14, v14
	s_wait_dscnt 0x0
	v_ashrrev_i32_e32 v15, 31, v14
	s_delay_alu instid0(VALU_DEP_1) | instskip(SKIP_3) | instid1(VALU_DEP_3)
	v_lshlrev_b64_e32 v[13:14], 3, v[14:15]
	v_add_co_u32 v15, vcc_lo, s8, v16
	s_wait_alu 0xfffd
	v_add_co_ci_u32_e64 v16, null, s9, v17, vcc_lo
	v_add_co_u32 v13, vcc_lo, s8, v13
	s_wait_alu 0xfffd
	v_add_co_ci_u32_e64 v14, null, s9, v14, vcc_lo
	s_clause 0x1
	global_load_b64 v[15:16], v[15:16], off
	global_load_b64 v[22:23], v[13:14], off
	s_wait_loadcnt 0x0
	v_fma_f64 v[15:16], -v[10:11], v[15:16], v[22:23]
	global_store_b64 v[13:14], v[15:16], off
	s_branch .LBB22_41
.LBB22_62:
	s_wait_alu 0xfffe
	s_or_b32 exec_lo, exec_lo, s2
	s_mov_b32 s4, -1
	s_mov_b32 s3, exec_lo
	s_wait_loadcnt 0x0
	s_wait_storecnt 0x0
	global_inv scope:SCOPE_SE
	v_cmpx_lt_i32_e32 -1, v8
	s_cbranch_execz .LBB22_78
; %bb.63:
	v_mov_b32_e32 v9, 0
	v_cmp_eq_u32_e64 s2, 0, v18
	s_delay_alu instid0(VALU_DEP_2) | instskip(NEXT) | instid1(VALU_DEP_1)
	v_lshlrev_b64_e32 v[8:9], 3, v[8:9]
	v_add_co_u32 v12, vcc_lo, s8, v8
	s_wait_alu 0xfffd
	s_delay_alu instid0(VALU_DEP_2)
	v_add_co_ci_u32_e64 v13, null, s9, v9, vcc_lo
	global_load_b64 v[8:9], v[12:13], off
	s_wait_loadcnt 0x0
	v_cmp_gt_f64_e32 vcc_lo, 0, v[8:9]
	v_xor_b32_e32 v0, 0x80000000, v9
	s_wait_alu 0xfffd
	s_delay_alu instid0(VALU_DEP_1)
	v_dual_mov_b32 v10, v8 :: v_dual_cndmask_b32 v11, v9, v0
	s_and_not1_b32 vcc_lo, exec_lo, s29
	s_wait_alu 0xfffe
	s_cbranch_vccnz .LBB22_67
; %bb.64:
	v_cvt_f64_f32_e32 v[14:15], s30
	s_cmp_eq_u64 s[20:21], 8
	s_cselect_b32 vcc_lo, -1, 0
	s_wait_alu 0xfffe
	s_delay_alu instid0(VALU_DEP_1) | instskip(NEXT) | instid1(VALU_DEP_1)
	v_dual_cndmask_b32 v4, v15, v4 :: v_dual_cndmask_b32 v3, v14, v3
	v_cmp_le_f64_e32 vcc_lo, v[10:11], v[3:4]
	s_and_b32 s5, s2, vcc_lo
	s_wait_alu 0xfffe
	s_and_saveexec_b32 s4, s5
	s_cbranch_execz .LBB22_66
; %bb.65:
	global_store_b64 v[12:13], v[5:6], off
	s_wait_storecnt 0x0
	global_inv scope:SCOPE_DEV
.LBB22_66:
	s_wait_alu 0xfffe
	s_or_b32 exec_lo, exec_lo, s4
	s_mov_b32 s4, 0
.LBB22_67:
	s_wait_alu 0xfffe
	s_and_not1_b32 vcc_lo, exec_lo, s4
	s_wait_alu 0xfffe
	s_cbranch_vccnz .LBB22_78
; %bb.68:
	s_load_b64 s[0:1], s[0:1], 0x48
	v_add_nc_u32_e32 v0, s28, v7
	s_wait_kmcnt 0x0
	v_cmp_ge_f64_e32 vcc_lo, s[0:1], v[10:11]
	s_and_b32 s1, s2, vcc_lo
	s_wait_alu 0xfffe
	s_and_saveexec_b32 s0, s1
	s_cbranch_execz .LBB22_73
; %bb.69:
	s_mov_b32 s4, exec_lo
	s_brev_b32 s1, -2
.LBB22_70:                              ; =>This Inner Loop Header: Depth=1
	s_wait_alu 0xfffe
	s_ctz_i32_b32 s5, s4
	s_wait_alu 0xfffe
	v_readlane_b32 s6, v0, s5
	s_lshl_b32 s5, 1, s5
	s_wait_alu 0xfffe
	s_and_not1_b32 s4, s4, s5
	s_min_i32 s1, s1, s6
	s_wait_alu 0xfffe
	s_cmp_lg_u32 s4, 0
	s_cbranch_scc1 .LBB22_70
; %bb.71:
	v_mbcnt_lo_u32_b32 v3, exec_lo, 0
	s_mov_b32 s4, exec_lo
	s_delay_alu instid0(VALU_DEP_1)
	v_cmpx_eq_u32_e32 0, v3
	s_wait_alu 0xfffe
	s_xor_b32 s4, exec_lo, s4
	s_cbranch_execz .LBB22_73
; %bb.72:
	v_dual_mov_b32 v3, 0 :: v_dual_mov_b32 v4, s1
	global_atomic_min_i32 v3, v4, s[18:19] scope:SCOPE_DEV
.LBB22_73:
	s_wait_alu 0xfffe
	s_or_b32 exec_lo, exec_lo, s0
	v_cmp_eq_f64_e32 vcc_lo, 0, v[8:9]
	s_and_b32 s0, s2, vcc_lo
	s_wait_alu 0xfffe
	s_and_b32 exec_lo, exec_lo, s0
	s_cbranch_execz .LBB22_78
; %bb.74:
	s_mov_b32 s1, exec_lo
	s_brev_b32 s0, -2
.LBB22_75:                              ; =>This Inner Loop Header: Depth=1
	s_wait_alu 0xfffe
	s_ctz_i32_b32 s2, s1
	s_wait_alu 0xfffe
	v_readlane_b32 s4, v0, s2
	s_lshl_b32 s2, 1, s2
	s_wait_alu 0xfffe
	s_and_not1_b32 s1, s1, s2
	s_min_i32 s0, s0, s4
	s_wait_alu 0xfffe
	s_cmp_lg_u32 s1, 0
	s_cbranch_scc1 .LBB22_75
; %bb.76:
	v_mbcnt_lo_u32_b32 v0, exec_lo, 0
	s_mov_b32 s1, exec_lo
	s_delay_alu instid0(VALU_DEP_1)
	v_cmpx_eq_u32_e32 0, v0
	s_wait_alu 0xfffe
	s_xor_b32 s1, exec_lo, s1
	s_cbranch_execz .LBB22_78
; %bb.77:
	v_dual_mov_b32 v0, 0 :: v_dual_mov_b32 v3, s0
	global_atomic_min_i32 v0, v3, s[16:17] scope:SCOPE_DEV
.LBB22_78:
	s_wait_alu 0xfffe
	s_or_b32 exec_lo, exec_lo, s3
	v_cmp_eq_u32_e32 vcc_lo, 0, v18
	s_wait_loadcnt 0x0
	s_wait_storecnt 0x0
	global_inv scope:SCOPE_DEV
	s_and_b32 exec_lo, exec_lo, vcc_lo
	s_cbranch_execz .LBB22_80
; %bb.79:
	v_add_co_u32 v0, vcc_lo, s12, v1
	s_wait_alu 0xfffd
	v_add_co_ci_u32_e64 v1, null, s13, v2, vcc_lo
	v_mov_b32_e32 v2, 1
	s_wait_loadcnt 0x0
	global_store_b32 v[0:1], v2, off scope:SCOPE_DEV
.LBB22_80:
	s_endpgm
	.section	.rodata,"a",@progbits
	.p2align	6, 0x0
	.amdhsa_kernel _ZN9rocsparseL12csrilu0_hashILj256ELj64ELj4EdEEviPKiS2_PT2_S2_PiS2_S5_S5_d21rocsparse_index_base_imNS_24const_host_device_scalarIfEENS7_IdEENS7_IS3_EEb
		.amdhsa_group_segment_fixed_size 8192
		.amdhsa_private_segment_fixed_size 0
		.amdhsa_kernarg_size 124
		.amdhsa_user_sgpr_count 2
		.amdhsa_user_sgpr_dispatch_ptr 0
		.amdhsa_user_sgpr_queue_ptr 0
		.amdhsa_user_sgpr_kernarg_segment_ptr 1
		.amdhsa_user_sgpr_dispatch_id 0
		.amdhsa_user_sgpr_private_segment_size 0
		.amdhsa_wavefront_size32 1
		.amdhsa_uses_dynamic_stack 0
		.amdhsa_enable_private_segment 0
		.amdhsa_system_sgpr_workgroup_id_x 1
		.amdhsa_system_sgpr_workgroup_id_y 0
		.amdhsa_system_sgpr_workgroup_id_z 0
		.amdhsa_system_sgpr_workgroup_info 0
		.amdhsa_system_vgpr_workitem_id 0
		.amdhsa_next_free_vgpr 30
		.amdhsa_next_free_sgpr 41
		.amdhsa_reserve_vcc 1
		.amdhsa_float_round_mode_32 0
		.amdhsa_float_round_mode_16_64 0
		.amdhsa_float_denorm_mode_32 3
		.amdhsa_float_denorm_mode_16_64 3
		.amdhsa_fp16_overflow 0
		.amdhsa_workgroup_processor_mode 1
		.amdhsa_memory_ordered 1
		.amdhsa_forward_progress 1
		.amdhsa_inst_pref_size 26
		.amdhsa_round_robin_scheduling 0
		.amdhsa_exception_fp_ieee_invalid_op 0
		.amdhsa_exception_fp_denorm_src 0
		.amdhsa_exception_fp_ieee_div_zero 0
		.amdhsa_exception_fp_ieee_overflow 0
		.amdhsa_exception_fp_ieee_underflow 0
		.amdhsa_exception_fp_ieee_inexact 0
		.amdhsa_exception_int_div_zero 0
	.end_amdhsa_kernel
	.section	.text._ZN9rocsparseL12csrilu0_hashILj256ELj64ELj4EdEEviPKiS2_PT2_S2_PiS2_S5_S5_d21rocsparse_index_base_imNS_24const_host_device_scalarIfEENS7_IdEENS7_IS3_EEb,"axG",@progbits,_ZN9rocsparseL12csrilu0_hashILj256ELj64ELj4EdEEviPKiS2_PT2_S2_PiS2_S5_S5_d21rocsparse_index_base_imNS_24const_host_device_scalarIfEENS7_IdEENS7_IS3_EEb,comdat
.Lfunc_end22:
	.size	_ZN9rocsparseL12csrilu0_hashILj256ELj64ELj4EdEEviPKiS2_PT2_S2_PiS2_S5_S5_d21rocsparse_index_base_imNS_24const_host_device_scalarIfEENS7_IdEENS7_IS3_EEb, .Lfunc_end22-_ZN9rocsparseL12csrilu0_hashILj256ELj64ELj4EdEEviPKiS2_PT2_S2_PiS2_S5_S5_d21rocsparse_index_base_imNS_24const_host_device_scalarIfEENS7_IdEENS7_IS3_EEb
                                        ; -- End function
	.set _ZN9rocsparseL12csrilu0_hashILj256ELj64ELj4EdEEviPKiS2_PT2_S2_PiS2_S5_S5_d21rocsparse_index_base_imNS_24const_host_device_scalarIfEENS7_IdEENS7_IS3_EEb.num_vgpr, 30
	.set _ZN9rocsparseL12csrilu0_hashILj256ELj64ELj4EdEEviPKiS2_PT2_S2_PiS2_S5_S5_d21rocsparse_index_base_imNS_24const_host_device_scalarIfEENS7_IdEENS7_IS3_EEb.num_agpr, 0
	.set _ZN9rocsparseL12csrilu0_hashILj256ELj64ELj4EdEEviPKiS2_PT2_S2_PiS2_S5_S5_d21rocsparse_index_base_imNS_24const_host_device_scalarIfEENS7_IdEENS7_IS3_EEb.numbered_sgpr, 41
	.set _ZN9rocsparseL12csrilu0_hashILj256ELj64ELj4EdEEviPKiS2_PT2_S2_PiS2_S5_S5_d21rocsparse_index_base_imNS_24const_host_device_scalarIfEENS7_IdEENS7_IS3_EEb.num_named_barrier, 0
	.set _ZN9rocsparseL12csrilu0_hashILj256ELj64ELj4EdEEviPKiS2_PT2_S2_PiS2_S5_S5_d21rocsparse_index_base_imNS_24const_host_device_scalarIfEENS7_IdEENS7_IS3_EEb.private_seg_size, 0
	.set _ZN9rocsparseL12csrilu0_hashILj256ELj64ELj4EdEEviPKiS2_PT2_S2_PiS2_S5_S5_d21rocsparse_index_base_imNS_24const_host_device_scalarIfEENS7_IdEENS7_IS3_EEb.uses_vcc, 1
	.set _ZN9rocsparseL12csrilu0_hashILj256ELj64ELj4EdEEviPKiS2_PT2_S2_PiS2_S5_S5_d21rocsparse_index_base_imNS_24const_host_device_scalarIfEENS7_IdEENS7_IS3_EEb.uses_flat_scratch, 0
	.set _ZN9rocsparseL12csrilu0_hashILj256ELj64ELj4EdEEviPKiS2_PT2_S2_PiS2_S5_S5_d21rocsparse_index_base_imNS_24const_host_device_scalarIfEENS7_IdEENS7_IS3_EEb.has_dyn_sized_stack, 0
	.set _ZN9rocsparseL12csrilu0_hashILj256ELj64ELj4EdEEviPKiS2_PT2_S2_PiS2_S5_S5_d21rocsparse_index_base_imNS_24const_host_device_scalarIfEENS7_IdEENS7_IS3_EEb.has_recursion, 0
	.set _ZN9rocsparseL12csrilu0_hashILj256ELj64ELj4EdEEviPKiS2_PT2_S2_PiS2_S5_S5_d21rocsparse_index_base_imNS_24const_host_device_scalarIfEENS7_IdEENS7_IS3_EEb.has_indirect_call, 0
	.section	.AMDGPU.csdata,"",@progbits
; Kernel info:
; codeLenInByte = 3264
; TotalNumSgprs: 43
; NumVgprs: 30
; ScratchSize: 0
; MemoryBound: 0
; FloatMode: 240
; IeeeMode: 1
; LDSByteSize: 8192 bytes/workgroup (compile time only)
; SGPRBlocks: 0
; VGPRBlocks: 3
; NumSGPRsForWavesPerEU: 43
; NumVGPRsForWavesPerEU: 30
; Occupancy: 16
; WaveLimiterHint : 1
; COMPUTE_PGM_RSRC2:SCRATCH_EN: 0
; COMPUTE_PGM_RSRC2:USER_SGPR: 2
; COMPUTE_PGM_RSRC2:TRAP_HANDLER: 0
; COMPUTE_PGM_RSRC2:TGID_X_EN: 1
; COMPUTE_PGM_RSRC2:TGID_Y_EN: 0
; COMPUTE_PGM_RSRC2:TGID_Z_EN: 0
; COMPUTE_PGM_RSRC2:TIDIG_COMP_CNT: 0
	.section	.text._ZN9rocsparseL12csrilu0_hashILj256ELj64ELj8EdEEviPKiS2_PT2_S2_PiS2_S5_S5_d21rocsparse_index_base_imNS_24const_host_device_scalarIfEENS7_IdEENS7_IS3_EEb,"axG",@progbits,_ZN9rocsparseL12csrilu0_hashILj256ELj64ELj8EdEEviPKiS2_PT2_S2_PiS2_S5_S5_d21rocsparse_index_base_imNS_24const_host_device_scalarIfEENS7_IdEENS7_IS3_EEb,comdat
	.globl	_ZN9rocsparseL12csrilu0_hashILj256ELj64ELj8EdEEviPKiS2_PT2_S2_PiS2_S5_S5_d21rocsparse_index_base_imNS_24const_host_device_scalarIfEENS7_IdEENS7_IS3_EEb ; -- Begin function _ZN9rocsparseL12csrilu0_hashILj256ELj64ELj8EdEEviPKiS2_PT2_S2_PiS2_S5_S5_d21rocsparse_index_base_imNS_24const_host_device_scalarIfEENS7_IdEENS7_IS3_EEb
	.p2align	8
	.type	_ZN9rocsparseL12csrilu0_hashILj256ELj64ELj8EdEEviPKiS2_PT2_S2_PiS2_S5_S5_d21rocsparse_index_base_imNS_24const_host_device_scalarIfEENS7_IdEENS7_IS3_EEb,@function
_ZN9rocsparseL12csrilu0_hashILj256ELj64ELj8EdEEviPKiS2_PT2_S2_PiS2_S5_S5_d21rocsparse_index_base_imNS_24const_host_device_scalarIfEENS7_IdEENS7_IS3_EEb: ; @_ZN9rocsparseL12csrilu0_hashILj256ELj64ELj8EdEEviPKiS2_PT2_S2_PiS2_S5_S5_d21rocsparse_index_base_imNS_24const_host_device_scalarIfEENS7_IdEENS7_IS3_EEb
; %bb.0:
	s_clause 0x2
	s_load_b32 s2, s[0:1], 0x78
	s_load_b64 s[28:29], s[0:1], 0x50
	s_load_b256 s[20:27], s[0:1], 0x58
	s_wait_kmcnt 0x0
	s_bitcmp1_b32 s2, 0
	s_cselect_b32 s2, -1, 0
	s_cmp_eq_u32 s29, 0
	s_cselect_b32 s4, -1, 0
	s_cmp_lg_u32 s29, 0
	s_cselect_b32 s29, -1, 0
	s_or_b32 s6, s4, s2
	s_delay_alu instid0(SALU_CYCLE_1)
	s_xor_b32 s5, s6, -1
	s_and_b32 s2, s4, exec_lo
	s_cselect_b32 s3, 0, s25
	s_cselect_b32 s2, 0, s24
	;; [unrolled: 1-line block ×3, first 2 shown]
	s_and_b32 vcc_lo, exec_lo, s6
	s_cbranch_vccnz .LBB23_2
; %bb.1:
	s_load_b32 s30, s[22:23], 0x0
	s_mov_b64 s[2:3], s[24:25]
.LBB23_2:
	v_cndmask_b32_e64 v1, 0, 1, s5
	v_dual_mov_b32 v4, s3 :: v_dual_mov_b32 v3, s2
	s_and_not1_b32 vcc_lo, exec_lo, s5
	s_cbranch_vccnz .LBB23_4
; %bb.3:
	v_dual_mov_b32 v2, s24 :: v_dual_mov_b32 v3, s25
	flat_load_b64 v[3:4], v[2:3]
.LBB23_4:
	s_and_b32 s2, s4, exec_lo
	s_cselect_b32 s3, 0, s27
	v_cmp_ne_u32_e32 vcc_lo, 1, v1
	s_cselect_b32 s2, 0, s26
	s_wait_alu 0xfffe
	v_dual_mov_b32 v6, s3 :: v_dual_mov_b32 v5, s2
	s_mov_b32 s2, 0
	s_cbranch_vccnz .LBB23_6
; %bb.5:
	v_dual_mov_b32 v1, s26 :: v_dual_mov_b32 v2, s27
	flat_load_b64 v[5:6], v[1:2]
.LBB23_6:
	v_lshrrev_b32_e32 v1, 6, v0
	v_and_b32_e32 v18, 63, v0
	s_delay_alu instid0(VALU_DEP_2) | instskip(NEXT) | instid1(VALU_DEP_2)
	v_lshlrev_b32_e32 v7, 11, v1
	v_lshlrev_b32_e32 v8, 2, v18
	v_or_b32_e32 v2, 0xffffffc0, v18
	s_delay_alu instid0(VALU_DEP_2)
	v_or3_b32 v7, v7, v8, 0x2000
	v_mov_b32_e32 v8, -1
.LBB23_7:                               ; =>This Inner Loop Header: Depth=1
	s_delay_alu instid0(VALU_DEP_3)
	v_add_nc_u32_e32 v2, 64, v2
	ds_store_b32 v7, v8
	v_add_nc_u32_e32 v7, 0x100, v7
	v_cmp_lt_u32_e32 vcc_lo, 0x1bf, v2
	s_wait_alu 0xfffe
	s_or_b32 s2, vcc_lo, s2
	s_wait_alu 0xfffe
	s_and_not1_b32 exec_lo, exec_lo, s2
	s_cbranch_execnz .LBB23_7
; %bb.8:
	s_or_b32 exec_lo, exec_lo, s2
	s_load_b32 s2, s[0:1], 0x0
	s_lshl_b32 s3, ttmp9, 2
	s_wait_loadcnt_dscnt 0x0
	global_inv scope:SCOPE_SE
	s_wait_alu 0xfffe
	v_and_or_b32 v1, 0x3fffffc, s3, v1
	s_wait_kmcnt 0x0
	s_delay_alu instid0(VALU_DEP_1)
	v_cmp_gt_i32_e32 vcc_lo, s2, v1
	s_and_saveexec_b32 s2, vcc_lo
	s_cbranch_execz .LBB23_80
; %bb.9:
	s_load_b512 s[4:19], s[0:1], 0x8
	v_lshlrev_b32_e32 v1, 2, v1
	v_lshlrev_b32_e32 v0, 5, v0
	s_mov_b32 s2, exec_lo
	s_delay_alu instid0(VALU_DEP_1) | instskip(NEXT) | instid1(VALU_DEP_1)
	v_and_b32_e32 v0, 0x1800, v0
	v_or_b32_e32 v19, 0x2000, v0
	s_wait_kmcnt 0x0
	global_load_b32 v7, v1, s[14:15]
	s_wait_loadcnt 0x0
	v_ashrrev_i32_e32 v8, 31, v7
	s_delay_alu instid0(VALU_DEP_1) | instskip(NEXT) | instid1(VALU_DEP_1)
	v_lshlrev_b64_e32 v[1:2], 2, v[7:8]
	v_add_co_u32 v8, vcc_lo, s4, v1
	s_delay_alu instid0(VALU_DEP_1)
	v_add_co_ci_u32_e64 v9, null, s5, v2, vcc_lo
	v_add_co_u32 v11, vcc_lo, s10, v1
	s_wait_alu 0xfffd
	v_add_co_ci_u32_e64 v12, null, s11, v2, vcc_lo
	global_load_b64 v[9:10], v[8:9], off
	global_load_b32 v8, v[11:12], off
	s_wait_loadcnt 0x1
	v_subrev_nc_u32_e32 v9, s28, v9
	v_subrev_nc_u32_e32 v12, s28, v10
	s_delay_alu instid0(VALU_DEP_2) | instskip(NEXT) | instid1(VALU_DEP_1)
	v_add_nc_u32_e32 v10, v9, v18
	v_cmpx_lt_i32_e64 v10, v12
	s_cbranch_execz .LBB23_32
; %bb.10:
	v_mov_b32_e32 v13, -1
	s_mov_b32 s3, 0
	s_branch .LBB23_12
.LBB23_11:                              ;   in Loop: Header=BB23_12 Depth=1
	s_or_b32 exec_lo, exec_lo, s14
	v_add_nc_u32_e32 v10, 64, v10
	s_delay_alu instid0(VALU_DEP_1)
	v_cmp_ge_i32_e32 vcc_lo, v10, v12
	s_or_b32 s3, vcc_lo, s3
	s_wait_alu 0xfffe
	s_and_not1_b32 exec_lo, exec_lo, s3
	s_cbranch_execz .LBB23_32
.LBB23_12:                              ; =>This Loop Header: Depth=1
                                        ;     Child Loop BB23_21 Depth 2
	v_ashrrev_i32_e32 v11, 31, v10
	s_mov_b32 s14, 0
                                        ; implicit-def: $sgpr15
                                        ; implicit-def: $sgpr22
                                        ; implicit-def: $sgpr23
	s_delay_alu instid0(VALU_DEP_1) | instskip(NEXT) | instid1(VALU_DEP_1)
	v_lshlrev_b64_e32 v[14:15], 2, v[10:11]
	v_add_co_u32 v14, vcc_lo, s6, v14
	s_wait_alu 0xfffd
	s_delay_alu instid0(VALU_DEP_2)
	v_add_co_ci_u32_e64 v15, null, s7, v15, vcc_lo
	global_load_b32 v11, v[14:15], off
	v_mov_b32_e32 v14, 0x200
	s_wait_loadcnt 0x0
	v_mul_lo_u32 v16, 0x67, v11
	s_branch .LBB23_21
.LBB23_13:                              ;   in Loop: Header=BB23_21 Depth=2
	s_or_b32 exec_lo, exec_lo, s37
	s_delay_alu instid0(SALU_CYCLE_1)
	s_or_not1_b32 s35, s35, exec_lo
	s_or_not1_b32 s36, s36, exec_lo
.LBB23_14:                              ;   in Loop: Header=BB23_21 Depth=2
	s_or_b32 exec_lo, exec_lo, s34
	s_delay_alu instid0(SALU_CYCLE_1)
	s_and_b32 s35, s35, exec_lo
	s_or_not1_b32 s34, s36, exec_lo
.LBB23_15:                              ;   in Loop: Header=BB23_21 Depth=2
	s_or_b32 exec_lo, exec_lo, s33
	s_delay_alu instid0(SALU_CYCLE_1)
	s_or_not1_b32 s33, s35, exec_lo
	s_or_not1_b32 s34, s34, exec_lo
.LBB23_16:                              ;   in Loop: Header=BB23_21 Depth=2
	s_or_b32 exec_lo, exec_lo, s31
	s_delay_alu instid0(SALU_CYCLE_1)
	s_and_b32 s33, s33, exec_lo
	s_or_not1_b32 s31, s34, exec_lo
.LBB23_17:                              ;   in Loop: Header=BB23_21 Depth=2
	s_wait_alu 0xfffe
	s_or_b32 exec_lo, exec_lo, s27
	s_delay_alu instid0(SALU_CYCLE_1)
	s_or_not1_b32 s27, s33, exec_lo
	s_or_not1_b32 s31, s31, exec_lo
.LBB23_18:                              ;   in Loop: Header=BB23_21 Depth=2
	s_wait_alu 0xfffe
	s_or_b32 exec_lo, exec_lo, s26
	s_delay_alu instid0(SALU_CYCLE_1)
	s_and_b32 s27, s27, exec_lo
	s_or_not1_b32 s26, s31, exec_lo
.LBB23_19:                              ;   in Loop: Header=BB23_21 Depth=2
	s_wait_alu 0xfffe
	s_or_b32 exec_lo, exec_lo, s25
	s_delay_alu instid0(SALU_CYCLE_1)
	s_and_not1_b32 s23, s23, exec_lo
	s_and_b32 s25, s27, exec_lo
	s_and_not1_b32 s22, s22, exec_lo
	s_and_b32 s26, s26, exec_lo
	s_wait_alu 0xfffe
	s_or_b32 s23, s23, s25
	s_or_b32 s22, s22, s26
.LBB23_20:                              ;   in Loop: Header=BB23_21 Depth=2
	s_wait_alu 0xfffe
	s_or_b32 exec_lo, exec_lo, s24
	s_delay_alu instid0(SALU_CYCLE_1)
	s_and_b32 s24, exec_lo, s22
	s_wait_alu 0xfffe
	s_or_b32 s14, s24, s14
	s_and_not1_b32 s15, s15, exec_lo
	s_and_b32 s24, s23, exec_lo
	s_wait_alu 0xfffe
	s_or_b32 s15, s15, s24
	s_and_not1_b32 exec_lo, exec_lo, s14
	s_cbranch_execz .LBB23_30
.LBB23_21:                              ;   Parent Loop BB23_12 Depth=1
                                        ; =>  This Inner Loop Header: Depth=2
	s_delay_alu instid0(VALU_DEP_1) | instskip(SKIP_3) | instid1(VALU_DEP_1)
	v_and_b32_e32 v15, 0x1ff, v16
	s_or_b32 s23, s23, exec_lo
	s_or_b32 s22, s22, exec_lo
	s_mov_b32 s24, exec_lo
	v_lshl_add_u32 v17, v15, 2, v19
	ds_load_b32 v20, v17
	s_wait_dscnt 0x0
	v_cmpx_ne_u32_e64 v20, v11
	s_cbranch_execz .LBB23_20
; %bb.22:                               ;   in Loop: Header=BB23_21 Depth=2
	ds_cmpstore_rtn_b32 v17, v17, v11, v13
	s_mov_b32 s26, -1
	s_mov_b32 s27, 0
	s_mov_b32 s25, exec_lo
	s_wait_dscnt 0x0
	v_cmpx_ne_u32_e32 -1, v17
	s_cbranch_execz .LBB23_19
; %bb.23:                               ;   in Loop: Header=BB23_21 Depth=2
	v_add_nc_u32_e32 v15, 1, v16
	s_mov_b32 s31, -1
	s_mov_b32 s27, -1
	s_mov_b32 s26, exec_lo
	s_delay_alu instid0(VALU_DEP_1) | instskip(NEXT) | instid1(VALU_DEP_1)
	v_and_b32_e32 v15, 0x1ff, v15
	v_lshl_add_u32 v17, v15, 2, v19
	ds_load_b32 v20, v17
	s_wait_dscnt 0x0
	v_cmpx_ne_u32_e64 v20, v11
	s_cbranch_execz .LBB23_18
; %bb.24:                               ;   in Loop: Header=BB23_21 Depth=2
	ds_cmpstore_rtn_b32 v17, v17, v11, v13
	s_mov_b32 s33, 0
	s_mov_b32 s27, exec_lo
	s_wait_dscnt 0x0
	v_cmpx_ne_u32_e32 -1, v17
	s_cbranch_execz .LBB23_17
; %bb.25:                               ;   in Loop: Header=BB23_21 Depth=2
	v_add_nc_u32_e32 v15, 2, v16
	s_mov_b32 s34, -1
	s_mov_b32 s33, -1
	s_mov_b32 s31, exec_lo
	s_delay_alu instid0(VALU_DEP_1) | instskip(NEXT) | instid1(VALU_DEP_1)
	v_and_b32_e32 v15, 0x1ff, v15
	v_lshl_add_u32 v17, v15, 2, v19
	ds_load_b32 v20, v17
	s_wait_dscnt 0x0
	v_cmpx_ne_u32_e64 v20, v11
	s_cbranch_execz .LBB23_16
; %bb.26:                               ;   in Loop: Header=BB23_21 Depth=2
	ds_cmpstore_rtn_b32 v17, v17, v11, v13
	s_mov_b32 s35, 0
	s_mov_b32 s33, exec_lo
	s_wait_dscnt 0x0
	v_cmpx_ne_u32_e32 -1, v17
	s_cbranch_execz .LBB23_15
; %bb.27:                               ;   in Loop: Header=BB23_21 Depth=2
	v_add_nc_u32_e32 v15, 3, v16
	s_mov_b32 s36, -1
	s_mov_b32 s35, -1
	s_delay_alu instid0(VALU_DEP_1) | instskip(NEXT) | instid1(VALU_DEP_1)
	v_and_b32_e32 v15, 0x1ff, v15
	v_lshl_add_u32 v17, v15, 2, v19
	ds_load_b32 v16, v17
	s_wait_dscnt 0x0
	v_cmp_ne_u32_e32 vcc_lo, v16, v11
                                        ; implicit-def: $vgpr16
	s_and_saveexec_b32 s34, vcc_lo
	s_cbranch_execz .LBB23_14
; %bb.28:                               ;   in Loop: Header=BB23_21 Depth=2
	ds_cmpstore_rtn_b32 v16, v17, v11, v13
	s_mov_b32 s35, 0
	s_wait_dscnt 0x0
	v_cmp_ne_u32_e32 vcc_lo, -1, v16
                                        ; implicit-def: $vgpr16
	s_and_saveexec_b32 s37, vcc_lo
	s_cbranch_execz .LBB23_13
; %bb.29:                               ;   in Loop: Header=BB23_21 Depth=2
	v_add_nc_u32_e32 v14, -4, v14
	v_add_nc_u32_e32 v16, 1, v15
	s_mov_b32 s35, exec_lo
	s_delay_alu instid0(VALU_DEP_2)
	v_cmp_eq_u32_e32 vcc_lo, 0, v14
	s_or_not1_b32 s36, vcc_lo, exec_lo
	s_branch .LBB23_13
.LBB23_30:                              ;   in Loop: Header=BB23_12 Depth=1
	s_or_b32 exec_lo, exec_lo, s14
	s_xor_b32 s14, s15, -1
	s_delay_alu instid0(SALU_CYCLE_1) | instskip(NEXT) | instid1(SALU_CYCLE_1)
	s_and_saveexec_b32 s15, s14
	s_xor_b32 s14, exec_lo, s15
	s_cbranch_execz .LBB23_11
; %bb.31:                               ;   in Loop: Header=BB23_12 Depth=1
	v_lshl_add_u32 v11, v15, 2, v0
	ds_store_b32 v11, v10
	s_branch .LBB23_11
.LBB23_32:
	s_wait_alu 0xfffe
	s_or_b32 exec_lo, exec_lo, s2
	s_delay_alu instid0(SALU_CYCLE_1)
	s_mov_b32 s2, exec_lo
	s_wait_loadcnt_dscnt 0x0
	global_inv scope:SCOPE_SE
	v_cmpx_lt_i32_e64 v9, v8
	s_cbranch_execz .LBB23_62
; %bb.33:
	v_add_nc_u32_e32 v20, 1, v18
	s_mov_b32 s3, 0
	s_branch .LBB23_36
.LBB23_34:                              ;   in Loop: Header=BB23_36 Depth=1
	s_or_b32 exec_lo, exec_lo, s15
	v_add_nc_u32_e32 v9, 1, v9
	s_delay_alu instid0(VALU_DEP_1)
	v_cmp_ge_i32_e32 vcc_lo, v9, v8
	s_or_not1_b32 s15, vcc_lo, exec_lo
.LBB23_35:                              ;   in Loop: Header=BB23_36 Depth=1
	s_or_b32 exec_lo, exec_lo, s14
	s_delay_alu instid0(SALU_CYCLE_1)
	s_and_b32 s14, exec_lo, s15
	s_wait_alu 0xfffe
	s_or_b32 s3, s14, s3
	s_wait_alu 0xfffe
	s_and_not1_b32 exec_lo, exec_lo, s3
	s_cbranch_execz .LBB23_62
.LBB23_36:                              ; =>This Loop Header: Depth=1
                                        ;     Child Loop BB23_37 Depth 2
                                        ;     Child Loop BB23_42 Depth 2
                                        ;       Child Loop BB23_51 Depth 3
	v_ashrrev_i32_e32 v10, 31, v9
	s_mov_b32 s14, 0
	s_delay_alu instid0(VALU_DEP_1) | instskip(SKIP_1) | instid1(VALU_DEP_2)
	v_lshlrev_b64_e32 v[11:12], 2, v[9:10]
	v_lshlrev_b64_e32 v[13:14], 3, v[9:10]
	v_add_co_u32 v11, vcc_lo, s6, v11
	s_wait_alu 0xfffd
	s_delay_alu instid0(VALU_DEP_3) | instskip(NEXT) | instid1(VALU_DEP_3)
	v_add_co_ci_u32_e64 v12, null, s7, v12, vcc_lo
	v_add_co_u32 v13, vcc_lo, s8, v13
	s_wait_alu 0xfffd
	v_add_co_ci_u32_e64 v14, null, s9, v14, vcc_lo
	global_load_b32 v11, v[11:12], off
	s_wait_loadcnt 0x0
	v_subrev_nc_u32_e32 v11, s28, v11
	s_delay_alu instid0(VALU_DEP_1) | instskip(NEXT) | instid1(VALU_DEP_1)
	v_ashrrev_i32_e32 v12, 31, v11
	v_lshlrev_b64_e32 v[15:16], 2, v[11:12]
	s_delay_alu instid0(VALU_DEP_1) | instskip(SKIP_1) | instid1(VALU_DEP_2)
	v_add_co_u32 v21, vcc_lo, s4, v15
	s_wait_alu 0xfffd
	v_add_co_ci_u32_e64 v22, null, s5, v16, vcc_lo
	v_add_co_u32 v23, vcc_lo, s10, v15
	s_wait_alu 0xfffd
	v_add_co_ci_u32_e64 v24, null, s11, v16, vcc_lo
	global_load_b64 v[10:11], v[13:14], off
	global_load_b32 v12, v[21:22], off offset:4
	global_load_b32 v17, v[23:24], off
	v_add_co_u32 v15, vcc_lo, s12, v15
	s_wait_alu 0xfffd
	v_add_co_ci_u32_e64 v16, null, s13, v16, vcc_lo
.LBB23_37:                              ;   Parent Loop BB23_36 Depth=1
                                        ; =>  This Inner Loop Header: Depth=2
	global_load_b32 v21, v[15:16], off scope:SCOPE_DEV
	s_wait_loadcnt 0x0
	v_cmp_ne_u32_e32 vcc_lo, 0, v21
	s_or_b32 s14, vcc_lo, s14
	s_delay_alu instid0(SALU_CYCLE_1)
	s_and_not1_b32 exec_lo, exec_lo, s14
	s_cbranch_execnz .LBB23_37
; %bb.38:                               ;   in Loop: Header=BB23_36 Depth=1
	s_or_b32 exec_lo, exec_lo, s14
	v_subrev_nc_u32_e32 v21, s28, v12
	v_cmp_eq_u32_e32 vcc_lo, -1, v17
	global_inv scope:SCOPE_DEV
	s_mov_b32 s15, -1
	s_mov_b32 s14, exec_lo
	v_add_nc_u32_e32 v12, -1, v21
	s_wait_alu 0xfffd
	s_delay_alu instid0(VALU_DEP_1) | instskip(NEXT) | instid1(VALU_DEP_1)
	v_cndmask_b32_e32 v15, v17, v12, vcc_lo
	v_ashrrev_i32_e32 v16, 31, v15
	s_delay_alu instid0(VALU_DEP_1) | instskip(NEXT) | instid1(VALU_DEP_1)
	v_lshlrev_b64_e32 v[16:17], 3, v[15:16]
	v_add_co_u32 v16, vcc_lo, s8, v16
	s_wait_alu 0xfffd
	s_delay_alu instid0(VALU_DEP_2)
	v_add_co_ci_u32_e64 v17, null, s9, v17, vcc_lo
	global_load_b64 v[16:17], v[16:17], off
	s_wait_loadcnt 0x0
	v_cmpx_neq_f64_e32 0, v[16:17]
	s_cbranch_execz .LBB23_35
; %bb.39:                               ;   in Loop: Header=BB23_36 Depth=1
	v_div_scale_f64 v[22:23], null, v[16:17], v[16:17], v[10:11]
	v_add_nc_u32_e32 v12, v20, v15
	s_mov_b32 s15, exec_lo
	s_delay_alu instid0(VALU_DEP_2) | instskip(NEXT) | instid1(TRANS32_DEP_1)
	v_rcp_f64_e32 v[24:25], v[22:23]
	v_fma_f64 v[26:27], -v[22:23], v[24:25], 1.0
	s_delay_alu instid0(VALU_DEP_1) | instskip(NEXT) | instid1(VALU_DEP_1)
	v_fma_f64 v[24:25], v[24:25], v[26:27], v[24:25]
	v_fma_f64 v[26:27], -v[22:23], v[24:25], 1.0
	s_delay_alu instid0(VALU_DEP_1) | instskip(SKIP_1) | instid1(VALU_DEP_1)
	v_fma_f64 v[24:25], v[24:25], v[26:27], v[24:25]
	v_div_scale_f64 v[26:27], vcc_lo, v[10:11], v[16:17], v[10:11]
	v_mul_f64_e32 v[28:29], v[26:27], v[24:25]
	s_delay_alu instid0(VALU_DEP_1) | instskip(SKIP_1) | instid1(VALU_DEP_1)
	v_fma_f64 v[22:23], -v[22:23], v[28:29], v[26:27]
	s_wait_alu 0xfffd
	v_div_fmas_f64 v[22:23], v[22:23], v[24:25], v[28:29]
	s_delay_alu instid0(VALU_DEP_1)
	v_div_fixup_f64 v[10:11], v[22:23], v[16:17], v[10:11]
	global_store_b64 v[13:14], v[10:11], off
	v_cmpx_lt_i32_e64 v12, v21
	s_cbranch_execz .LBB23_34
; %bb.40:                               ;   in Loop: Header=BB23_36 Depth=1
	s_mov_b32 s22, 0
	s_branch .LBB23_42
.LBB23_41:                              ;   in Loop: Header=BB23_42 Depth=2
	s_or_b32 exec_lo, exec_lo, s23
	v_add_nc_u32_e32 v12, 64, v12
	s_delay_alu instid0(VALU_DEP_1) | instskip(SKIP_1) | instid1(SALU_CYCLE_1)
	v_cmp_ge_i32_e32 vcc_lo, v12, v21
	s_or_b32 s22, vcc_lo, s22
	s_and_not1_b32 exec_lo, exec_lo, s22
	s_cbranch_execz .LBB23_34
.LBB23_42:                              ;   Parent Loop BB23_36 Depth=1
                                        ; =>  This Loop Header: Depth=2
                                        ;       Child Loop BB23_51 Depth 3
	v_ashrrev_i32_e32 v13, 31, v12
	s_mov_b32 s23, 0
                                        ; implicit-def: $sgpr24
                                        ; implicit-def: $sgpr25
                                        ; implicit-def: $sgpr26
	s_delay_alu instid0(VALU_DEP_1) | instskip(NEXT) | instid1(VALU_DEP_1)
	v_lshlrev_b64_e32 v[14:15], 2, v[12:13]
	v_add_co_u32 v14, vcc_lo, s6, v14
	s_wait_alu 0xfffd
	s_delay_alu instid0(VALU_DEP_2)
	v_add_co_ci_u32_e64 v15, null, s7, v15, vcc_lo
	global_load_b32 v14, v[14:15], off
	v_mov_b32_e32 v15, 0x200
	s_wait_loadcnt 0x0
	v_mul_lo_u32 v17, 0x67, v14
	s_branch .LBB23_51
.LBB23_43:                              ;   in Loop: Header=BB23_51 Depth=3
	s_or_b32 exec_lo, exec_lo, s40
	s_delay_alu instid0(SALU_CYCLE_1)
	s_or_not1_b32 s38, s38, exec_lo
	s_or_not1_b32 s39, s39, exec_lo
.LBB23_44:                              ;   in Loop: Header=BB23_51 Depth=3
	s_or_b32 exec_lo, exec_lo, s37
	s_delay_alu instid0(SALU_CYCLE_1)
	s_and_b32 s38, s38, exec_lo
	s_or_not1_b32 s37, s39, exec_lo
.LBB23_45:                              ;   in Loop: Header=BB23_51 Depth=3
	s_or_b32 exec_lo, exec_lo, s36
	s_delay_alu instid0(SALU_CYCLE_1)
	s_or_not1_b32 s36, s38, exec_lo
	s_or_not1_b32 s37, s37, exec_lo
.LBB23_46:                              ;   in Loop: Header=BB23_51 Depth=3
	s_or_b32 exec_lo, exec_lo, s35
	s_delay_alu instid0(SALU_CYCLE_1)
	s_and_b32 s36, s36, exec_lo
	s_or_not1_b32 s35, s37, exec_lo
.LBB23_47:                              ;   in Loop: Header=BB23_51 Depth=3
	s_or_b32 exec_lo, exec_lo, s34
	s_delay_alu instid0(SALU_CYCLE_1)
	s_or_not1_b32 s34, s36, exec_lo
	s_or_not1_b32 s35, s35, exec_lo
.LBB23_48:                              ;   in Loop: Header=BB23_51 Depth=3
	s_or_b32 exec_lo, exec_lo, s33
	s_delay_alu instid0(SALU_CYCLE_1)
	s_and_b32 s34, s34, exec_lo
	s_or_not1_b32 s33, s35, exec_lo
.LBB23_49:                              ;   in Loop: Header=BB23_51 Depth=3
	s_or_b32 exec_lo, exec_lo, s31
	s_wait_alu 0xfffe
	s_and_not1_b32 s26, s26, exec_lo
	s_and_b32 s31, s34, exec_lo
	s_and_not1_b32 s25, s25, exec_lo
	s_and_b32 s33, s33, exec_lo
	s_wait_alu 0xfffe
	s_or_b32 s26, s26, s31
	s_or_b32 s25, s25, s33
.LBB23_50:                              ;   in Loop: Header=BB23_51 Depth=3
	s_wait_alu 0xfffe
	s_or_b32 exec_lo, exec_lo, s27
	s_delay_alu instid0(SALU_CYCLE_1)
	s_and_b32 s27, exec_lo, s25
	s_wait_alu 0xfffe
	s_or_b32 s23, s27, s23
	s_and_not1_b32 s24, s24, exec_lo
	s_and_b32 s27, s26, exec_lo
	s_wait_alu 0xfffe
	s_or_b32 s24, s24, s27
	s_and_not1_b32 exec_lo, exec_lo, s23
	s_cbranch_execz .LBB23_60
.LBB23_51:                              ;   Parent Loop BB23_36 Depth=1
                                        ;     Parent Loop BB23_42 Depth=2
                                        ; =>    This Inner Loop Header: Depth=3
	s_delay_alu instid0(VALU_DEP_1) | instskip(SKIP_3) | instid1(VALU_DEP_1)
	v_and_b32_e32 v16, 0x1ff, v17
	s_or_b32 s26, s26, exec_lo
	s_or_b32 s25, s25, exec_lo
	s_mov_b32 s27, exec_lo
	v_lshl_add_u32 v22, v16, 2, v19
	ds_load_b32 v22, v22
	s_wait_dscnt 0x0
	v_cmpx_ne_u32_e32 -1, v22
	s_cbranch_execz .LBB23_50
; %bb.52:                               ;   in Loop: Header=BB23_51 Depth=3
	s_mov_b32 s33, -1
	s_mov_b32 s34, 0
	s_mov_b32 s31, exec_lo
	v_cmpx_ne_u32_e64 v22, v14
	s_cbranch_execz .LBB23_49
; %bb.53:                               ;   in Loop: Header=BB23_51 Depth=3
	v_add_nc_u32_e32 v16, 1, v17
	s_mov_b32 s35, -1
	s_mov_b32 s34, -1
	s_mov_b32 s33, exec_lo
	s_delay_alu instid0(VALU_DEP_1) | instskip(NEXT) | instid1(VALU_DEP_1)
	v_and_b32_e32 v16, 0x1ff, v16
	v_lshl_add_u32 v22, v16, 2, v19
	ds_load_b32 v22, v22
	s_wait_dscnt 0x0
	v_cmpx_ne_u32_e32 -1, v22
	s_cbranch_execz .LBB23_48
; %bb.54:                               ;   in Loop: Header=BB23_51 Depth=3
	s_mov_b32 s36, 0
	s_mov_b32 s34, exec_lo
	v_cmpx_ne_u32_e64 v22, v14
	s_cbranch_execz .LBB23_47
; %bb.55:                               ;   in Loop: Header=BB23_51 Depth=3
	v_add_nc_u32_e32 v16, 2, v17
	s_mov_b32 s37, -1
	s_mov_b32 s36, -1
	s_mov_b32 s35, exec_lo
	s_delay_alu instid0(VALU_DEP_1) | instskip(NEXT) | instid1(VALU_DEP_1)
	v_and_b32_e32 v16, 0x1ff, v16
	v_lshl_add_u32 v22, v16, 2, v19
	ds_load_b32 v22, v22
	s_wait_dscnt 0x0
	v_cmpx_ne_u32_e32 -1, v22
	s_cbranch_execz .LBB23_46
; %bb.56:                               ;   in Loop: Header=BB23_51 Depth=3
	s_mov_b32 s38, 0
	s_mov_b32 s36, exec_lo
	v_cmpx_ne_u32_e64 v22, v14
	s_cbranch_execz .LBB23_45
; %bb.57:                               ;   in Loop: Header=BB23_51 Depth=3
	v_add_nc_u32_e32 v16, 3, v17
	s_mov_b32 s39, -1
	s_mov_b32 s38, -1
	s_mov_b32 s37, exec_lo
	s_delay_alu instid0(VALU_DEP_1) | instskip(NEXT) | instid1(VALU_DEP_1)
	v_and_b32_e32 v16, 0x1ff, v16
	v_lshl_add_u32 v17, v16, 2, v19
	ds_load_b32 v22, v17
                                        ; implicit-def: $vgpr17
	s_wait_dscnt 0x0
	v_cmpx_ne_u32_e32 -1, v22
	s_cbranch_execz .LBB23_44
; %bb.58:                               ;   in Loop: Header=BB23_51 Depth=3
	s_mov_b32 s38, 0
	s_mov_b32 s40, exec_lo
                                        ; implicit-def: $vgpr17
	v_cmpx_ne_u32_e64 v22, v14
	s_cbranch_execz .LBB23_43
; %bb.59:                               ;   in Loop: Header=BB23_51 Depth=3
	v_add_nc_u32_e32 v15, -4, v15
	v_add_nc_u32_e32 v17, 1, v16
	s_mov_b32 s38, exec_lo
	s_delay_alu instid0(VALU_DEP_2)
	v_cmp_eq_u32_e32 vcc_lo, 0, v15
	s_or_not1_b32 s39, vcc_lo, exec_lo
	s_branch .LBB23_43
.LBB23_60:                              ;   in Loop: Header=BB23_42 Depth=2
	s_or_b32 exec_lo, exec_lo, s23
	s_wait_alu 0xfffe
	s_xor_b32 s23, s24, -1
	s_delay_alu instid0(SALU_CYCLE_1)
	s_and_saveexec_b32 s24, s23
	s_wait_alu 0xfffe
	s_xor_b32 s23, exec_lo, s24
	s_cbranch_execz .LBB23_41
; %bb.61:                               ;   in Loop: Header=BB23_42 Depth=2
	v_lshl_add_u32 v14, v16, 2, v0
	v_lshlrev_b64_e32 v[16:17], 3, v[12:13]
	ds_load_b32 v14, v14
	s_wait_dscnt 0x0
	v_ashrrev_i32_e32 v15, 31, v14
	s_delay_alu instid0(VALU_DEP_1) | instskip(SKIP_3) | instid1(VALU_DEP_3)
	v_lshlrev_b64_e32 v[13:14], 3, v[14:15]
	v_add_co_u32 v15, vcc_lo, s8, v16
	s_wait_alu 0xfffd
	v_add_co_ci_u32_e64 v16, null, s9, v17, vcc_lo
	v_add_co_u32 v13, vcc_lo, s8, v13
	s_wait_alu 0xfffd
	v_add_co_ci_u32_e64 v14, null, s9, v14, vcc_lo
	s_clause 0x1
	global_load_b64 v[15:16], v[15:16], off
	global_load_b64 v[22:23], v[13:14], off
	s_wait_loadcnt 0x0
	v_fma_f64 v[15:16], -v[10:11], v[15:16], v[22:23]
	global_store_b64 v[13:14], v[15:16], off
	s_branch .LBB23_41
.LBB23_62:
	s_wait_alu 0xfffe
	s_or_b32 exec_lo, exec_lo, s2
	s_mov_b32 s4, -1
	s_mov_b32 s3, exec_lo
	s_wait_loadcnt 0x0
	s_wait_storecnt 0x0
	global_inv scope:SCOPE_SE
	v_cmpx_lt_i32_e32 -1, v8
	s_cbranch_execz .LBB23_78
; %bb.63:
	v_mov_b32_e32 v9, 0
	v_cmp_eq_u32_e64 s2, 0, v18
	s_delay_alu instid0(VALU_DEP_2) | instskip(NEXT) | instid1(VALU_DEP_1)
	v_lshlrev_b64_e32 v[8:9], 3, v[8:9]
	v_add_co_u32 v12, vcc_lo, s8, v8
	s_wait_alu 0xfffd
	s_delay_alu instid0(VALU_DEP_2)
	v_add_co_ci_u32_e64 v13, null, s9, v9, vcc_lo
	global_load_b64 v[8:9], v[12:13], off
	s_wait_loadcnt 0x0
	v_cmp_gt_f64_e32 vcc_lo, 0, v[8:9]
	v_xor_b32_e32 v0, 0x80000000, v9
	s_wait_alu 0xfffd
	s_delay_alu instid0(VALU_DEP_1)
	v_dual_mov_b32 v10, v8 :: v_dual_cndmask_b32 v11, v9, v0
	s_and_not1_b32 vcc_lo, exec_lo, s29
	s_wait_alu 0xfffe
	s_cbranch_vccnz .LBB23_67
; %bb.64:
	v_cvt_f64_f32_e32 v[14:15], s30
	s_cmp_eq_u64 s[20:21], 8
	s_cselect_b32 vcc_lo, -1, 0
	s_wait_alu 0xfffe
	s_delay_alu instid0(VALU_DEP_1) | instskip(NEXT) | instid1(VALU_DEP_1)
	v_dual_cndmask_b32 v4, v15, v4 :: v_dual_cndmask_b32 v3, v14, v3
	v_cmp_le_f64_e32 vcc_lo, v[10:11], v[3:4]
	s_and_b32 s5, s2, vcc_lo
	s_wait_alu 0xfffe
	s_and_saveexec_b32 s4, s5
	s_cbranch_execz .LBB23_66
; %bb.65:
	global_store_b64 v[12:13], v[5:6], off
	s_wait_storecnt 0x0
	global_inv scope:SCOPE_DEV
.LBB23_66:
	s_wait_alu 0xfffe
	s_or_b32 exec_lo, exec_lo, s4
	s_mov_b32 s4, 0
.LBB23_67:
	s_wait_alu 0xfffe
	s_and_not1_b32 vcc_lo, exec_lo, s4
	s_wait_alu 0xfffe
	s_cbranch_vccnz .LBB23_78
; %bb.68:
	s_load_b64 s[0:1], s[0:1], 0x48
	v_add_nc_u32_e32 v0, s28, v7
	s_wait_kmcnt 0x0
	v_cmp_ge_f64_e32 vcc_lo, s[0:1], v[10:11]
	s_and_b32 s1, s2, vcc_lo
	s_wait_alu 0xfffe
	s_and_saveexec_b32 s0, s1
	s_cbranch_execz .LBB23_73
; %bb.69:
	s_mov_b32 s4, exec_lo
	s_brev_b32 s1, -2
.LBB23_70:                              ; =>This Inner Loop Header: Depth=1
	s_wait_alu 0xfffe
	s_ctz_i32_b32 s5, s4
	s_wait_alu 0xfffe
	v_readlane_b32 s6, v0, s5
	s_lshl_b32 s5, 1, s5
	s_wait_alu 0xfffe
	s_and_not1_b32 s4, s4, s5
	s_min_i32 s1, s1, s6
	s_wait_alu 0xfffe
	s_cmp_lg_u32 s4, 0
	s_cbranch_scc1 .LBB23_70
; %bb.71:
	v_mbcnt_lo_u32_b32 v3, exec_lo, 0
	s_mov_b32 s4, exec_lo
	s_delay_alu instid0(VALU_DEP_1)
	v_cmpx_eq_u32_e32 0, v3
	s_wait_alu 0xfffe
	s_xor_b32 s4, exec_lo, s4
	s_cbranch_execz .LBB23_73
; %bb.72:
	v_dual_mov_b32 v3, 0 :: v_dual_mov_b32 v4, s1
	global_atomic_min_i32 v3, v4, s[18:19] scope:SCOPE_DEV
.LBB23_73:
	s_wait_alu 0xfffe
	s_or_b32 exec_lo, exec_lo, s0
	v_cmp_eq_f64_e32 vcc_lo, 0, v[8:9]
	s_and_b32 s0, s2, vcc_lo
	s_wait_alu 0xfffe
	s_and_b32 exec_lo, exec_lo, s0
	s_cbranch_execz .LBB23_78
; %bb.74:
	s_mov_b32 s1, exec_lo
	s_brev_b32 s0, -2
.LBB23_75:                              ; =>This Inner Loop Header: Depth=1
	s_wait_alu 0xfffe
	s_ctz_i32_b32 s2, s1
	s_wait_alu 0xfffe
	v_readlane_b32 s4, v0, s2
	s_lshl_b32 s2, 1, s2
	s_wait_alu 0xfffe
	s_and_not1_b32 s1, s1, s2
	s_min_i32 s0, s0, s4
	s_wait_alu 0xfffe
	s_cmp_lg_u32 s1, 0
	s_cbranch_scc1 .LBB23_75
; %bb.76:
	v_mbcnt_lo_u32_b32 v0, exec_lo, 0
	s_mov_b32 s1, exec_lo
	s_delay_alu instid0(VALU_DEP_1)
	v_cmpx_eq_u32_e32 0, v0
	s_wait_alu 0xfffe
	s_xor_b32 s1, exec_lo, s1
	s_cbranch_execz .LBB23_78
; %bb.77:
	v_dual_mov_b32 v0, 0 :: v_dual_mov_b32 v3, s0
	global_atomic_min_i32 v0, v3, s[16:17] scope:SCOPE_DEV
.LBB23_78:
	s_wait_alu 0xfffe
	s_or_b32 exec_lo, exec_lo, s3
	v_cmp_eq_u32_e32 vcc_lo, 0, v18
	s_wait_loadcnt 0x0
	s_wait_storecnt 0x0
	global_inv scope:SCOPE_DEV
	s_and_b32 exec_lo, exec_lo, vcc_lo
	s_cbranch_execz .LBB23_80
; %bb.79:
	v_add_co_u32 v0, vcc_lo, s12, v1
	s_wait_alu 0xfffd
	v_add_co_ci_u32_e64 v1, null, s13, v2, vcc_lo
	v_mov_b32_e32 v2, 1
	s_wait_loadcnt 0x0
	global_store_b32 v[0:1], v2, off scope:SCOPE_DEV
.LBB23_80:
	s_endpgm
	.section	.rodata,"a",@progbits
	.p2align	6, 0x0
	.amdhsa_kernel _ZN9rocsparseL12csrilu0_hashILj256ELj64ELj8EdEEviPKiS2_PT2_S2_PiS2_S5_S5_d21rocsparse_index_base_imNS_24const_host_device_scalarIfEENS7_IdEENS7_IS3_EEb
		.amdhsa_group_segment_fixed_size 16384
		.amdhsa_private_segment_fixed_size 0
		.amdhsa_kernarg_size 124
		.amdhsa_user_sgpr_count 2
		.amdhsa_user_sgpr_dispatch_ptr 0
		.amdhsa_user_sgpr_queue_ptr 0
		.amdhsa_user_sgpr_kernarg_segment_ptr 1
		.amdhsa_user_sgpr_dispatch_id 0
		.amdhsa_user_sgpr_private_segment_size 0
		.amdhsa_wavefront_size32 1
		.amdhsa_uses_dynamic_stack 0
		.amdhsa_enable_private_segment 0
		.amdhsa_system_sgpr_workgroup_id_x 1
		.amdhsa_system_sgpr_workgroup_id_y 0
		.amdhsa_system_sgpr_workgroup_id_z 0
		.amdhsa_system_sgpr_workgroup_info 0
		.amdhsa_system_vgpr_workitem_id 0
		.amdhsa_next_free_vgpr 30
		.amdhsa_next_free_sgpr 41
		.amdhsa_reserve_vcc 1
		.amdhsa_float_round_mode_32 0
		.amdhsa_float_round_mode_16_64 0
		.amdhsa_float_denorm_mode_32 3
		.amdhsa_float_denorm_mode_16_64 3
		.amdhsa_fp16_overflow 0
		.amdhsa_workgroup_processor_mode 1
		.amdhsa_memory_ordered 1
		.amdhsa_forward_progress 1
		.amdhsa_inst_pref_size 26
		.amdhsa_round_robin_scheduling 0
		.amdhsa_exception_fp_ieee_invalid_op 0
		.amdhsa_exception_fp_denorm_src 0
		.amdhsa_exception_fp_ieee_div_zero 0
		.amdhsa_exception_fp_ieee_overflow 0
		.amdhsa_exception_fp_ieee_underflow 0
		.amdhsa_exception_fp_ieee_inexact 0
		.amdhsa_exception_int_div_zero 0
	.end_amdhsa_kernel
	.section	.text._ZN9rocsparseL12csrilu0_hashILj256ELj64ELj8EdEEviPKiS2_PT2_S2_PiS2_S5_S5_d21rocsparse_index_base_imNS_24const_host_device_scalarIfEENS7_IdEENS7_IS3_EEb,"axG",@progbits,_ZN9rocsparseL12csrilu0_hashILj256ELj64ELj8EdEEviPKiS2_PT2_S2_PiS2_S5_S5_d21rocsparse_index_base_imNS_24const_host_device_scalarIfEENS7_IdEENS7_IS3_EEb,comdat
.Lfunc_end23:
	.size	_ZN9rocsparseL12csrilu0_hashILj256ELj64ELj8EdEEviPKiS2_PT2_S2_PiS2_S5_S5_d21rocsparse_index_base_imNS_24const_host_device_scalarIfEENS7_IdEENS7_IS3_EEb, .Lfunc_end23-_ZN9rocsparseL12csrilu0_hashILj256ELj64ELj8EdEEviPKiS2_PT2_S2_PiS2_S5_S5_d21rocsparse_index_base_imNS_24const_host_device_scalarIfEENS7_IdEENS7_IS3_EEb
                                        ; -- End function
	.set _ZN9rocsparseL12csrilu0_hashILj256ELj64ELj8EdEEviPKiS2_PT2_S2_PiS2_S5_S5_d21rocsparse_index_base_imNS_24const_host_device_scalarIfEENS7_IdEENS7_IS3_EEb.num_vgpr, 30
	.set _ZN9rocsparseL12csrilu0_hashILj256ELj64ELj8EdEEviPKiS2_PT2_S2_PiS2_S5_S5_d21rocsparse_index_base_imNS_24const_host_device_scalarIfEENS7_IdEENS7_IS3_EEb.num_agpr, 0
	.set _ZN9rocsparseL12csrilu0_hashILj256ELj64ELj8EdEEviPKiS2_PT2_S2_PiS2_S5_S5_d21rocsparse_index_base_imNS_24const_host_device_scalarIfEENS7_IdEENS7_IS3_EEb.numbered_sgpr, 41
	.set _ZN9rocsparseL12csrilu0_hashILj256ELj64ELj8EdEEviPKiS2_PT2_S2_PiS2_S5_S5_d21rocsparse_index_base_imNS_24const_host_device_scalarIfEENS7_IdEENS7_IS3_EEb.num_named_barrier, 0
	.set _ZN9rocsparseL12csrilu0_hashILj256ELj64ELj8EdEEviPKiS2_PT2_S2_PiS2_S5_S5_d21rocsparse_index_base_imNS_24const_host_device_scalarIfEENS7_IdEENS7_IS3_EEb.private_seg_size, 0
	.set _ZN9rocsparseL12csrilu0_hashILj256ELj64ELj8EdEEviPKiS2_PT2_S2_PiS2_S5_S5_d21rocsparse_index_base_imNS_24const_host_device_scalarIfEENS7_IdEENS7_IS3_EEb.uses_vcc, 1
	.set _ZN9rocsparseL12csrilu0_hashILj256ELj64ELj8EdEEviPKiS2_PT2_S2_PiS2_S5_S5_d21rocsparse_index_base_imNS_24const_host_device_scalarIfEENS7_IdEENS7_IS3_EEb.uses_flat_scratch, 0
	.set _ZN9rocsparseL12csrilu0_hashILj256ELj64ELj8EdEEviPKiS2_PT2_S2_PiS2_S5_S5_d21rocsparse_index_base_imNS_24const_host_device_scalarIfEENS7_IdEENS7_IS3_EEb.has_dyn_sized_stack, 0
	.set _ZN9rocsparseL12csrilu0_hashILj256ELj64ELj8EdEEviPKiS2_PT2_S2_PiS2_S5_S5_d21rocsparse_index_base_imNS_24const_host_device_scalarIfEENS7_IdEENS7_IS3_EEb.has_recursion, 0
	.set _ZN9rocsparseL12csrilu0_hashILj256ELj64ELj8EdEEviPKiS2_PT2_S2_PiS2_S5_S5_d21rocsparse_index_base_imNS_24const_host_device_scalarIfEENS7_IdEENS7_IS3_EEb.has_indirect_call, 0
	.section	.AMDGPU.csdata,"",@progbits
; Kernel info:
; codeLenInByte = 3264
; TotalNumSgprs: 43
; NumVgprs: 30
; ScratchSize: 0
; MemoryBound: 0
; FloatMode: 240
; IeeeMode: 1
; LDSByteSize: 16384 bytes/workgroup (compile time only)
; SGPRBlocks: 0
; VGPRBlocks: 3
; NumSGPRsForWavesPerEU: 43
; NumVGPRsForWavesPerEU: 30
; Occupancy: 16
; WaveLimiterHint : 1
; COMPUTE_PGM_RSRC2:SCRATCH_EN: 0
; COMPUTE_PGM_RSRC2:USER_SGPR: 2
; COMPUTE_PGM_RSRC2:TRAP_HANDLER: 0
; COMPUTE_PGM_RSRC2:TGID_X_EN: 1
; COMPUTE_PGM_RSRC2:TGID_Y_EN: 0
; COMPUTE_PGM_RSRC2:TGID_Z_EN: 0
; COMPUTE_PGM_RSRC2:TIDIG_COMP_CNT: 0
	.section	.text._ZN9rocsparseL12csrilu0_hashILj256ELj64ELj16EdEEviPKiS2_PT2_S2_PiS2_S5_S5_d21rocsparse_index_base_imNS_24const_host_device_scalarIfEENS7_IdEENS7_IS3_EEb,"axG",@progbits,_ZN9rocsparseL12csrilu0_hashILj256ELj64ELj16EdEEviPKiS2_PT2_S2_PiS2_S5_S5_d21rocsparse_index_base_imNS_24const_host_device_scalarIfEENS7_IdEENS7_IS3_EEb,comdat
	.globl	_ZN9rocsparseL12csrilu0_hashILj256ELj64ELj16EdEEviPKiS2_PT2_S2_PiS2_S5_S5_d21rocsparse_index_base_imNS_24const_host_device_scalarIfEENS7_IdEENS7_IS3_EEb ; -- Begin function _ZN9rocsparseL12csrilu0_hashILj256ELj64ELj16EdEEviPKiS2_PT2_S2_PiS2_S5_S5_d21rocsparse_index_base_imNS_24const_host_device_scalarIfEENS7_IdEENS7_IS3_EEb
	.p2align	8
	.type	_ZN9rocsparseL12csrilu0_hashILj256ELj64ELj16EdEEviPKiS2_PT2_S2_PiS2_S5_S5_d21rocsparse_index_base_imNS_24const_host_device_scalarIfEENS7_IdEENS7_IS3_EEb,@function
_ZN9rocsparseL12csrilu0_hashILj256ELj64ELj16EdEEviPKiS2_PT2_S2_PiS2_S5_S5_d21rocsparse_index_base_imNS_24const_host_device_scalarIfEENS7_IdEENS7_IS3_EEb: ; @_ZN9rocsparseL12csrilu0_hashILj256ELj64ELj16EdEEviPKiS2_PT2_S2_PiS2_S5_S5_d21rocsparse_index_base_imNS_24const_host_device_scalarIfEENS7_IdEENS7_IS3_EEb
; %bb.0:
	s_clause 0x2
	s_load_b32 s2, s[0:1], 0x78
	s_load_b64 s[28:29], s[0:1], 0x50
	s_load_b256 s[20:27], s[0:1], 0x58
	s_wait_kmcnt 0x0
	s_bitcmp1_b32 s2, 0
	s_cselect_b32 s2, -1, 0
	s_cmp_eq_u32 s29, 0
	s_cselect_b32 s4, -1, 0
	s_cmp_lg_u32 s29, 0
	s_cselect_b32 s29, -1, 0
	s_or_b32 s6, s4, s2
	s_delay_alu instid0(SALU_CYCLE_1)
	s_xor_b32 s5, s6, -1
	s_and_b32 s2, s4, exec_lo
	s_cselect_b32 s3, 0, s25
	s_cselect_b32 s2, 0, s24
	;; [unrolled: 1-line block ×3, first 2 shown]
	s_and_b32 vcc_lo, exec_lo, s6
	s_cbranch_vccnz .LBB24_2
; %bb.1:
	s_load_b32 s30, s[22:23], 0x0
	s_mov_b64 s[2:3], s[24:25]
.LBB24_2:
	v_cndmask_b32_e64 v1, 0, 1, s5
	v_dual_mov_b32 v4, s3 :: v_dual_mov_b32 v3, s2
	s_and_not1_b32 vcc_lo, exec_lo, s5
	s_cbranch_vccnz .LBB24_4
; %bb.3:
	v_dual_mov_b32 v2, s24 :: v_dual_mov_b32 v3, s25
	flat_load_b64 v[3:4], v[2:3]
.LBB24_4:
	s_and_b32 s2, s4, exec_lo
	s_cselect_b32 s3, 0, s27
	v_cmp_ne_u32_e32 vcc_lo, 1, v1
	s_cselect_b32 s2, 0, s26
	s_wait_alu 0xfffe
	v_dual_mov_b32 v6, s3 :: v_dual_mov_b32 v5, s2
	s_mov_b32 s2, 0
	s_cbranch_vccnz .LBB24_6
; %bb.5:
	v_dual_mov_b32 v1, s26 :: v_dual_mov_b32 v2, s27
	flat_load_b64 v[5:6], v[1:2]
.LBB24_6:
	v_lshrrev_b32_e32 v1, 6, v0
	v_and_b32_e32 v18, 63, v0
	s_delay_alu instid0(VALU_DEP_2) | instskip(NEXT) | instid1(VALU_DEP_2)
	v_lshlrev_b32_e32 v7, 12, v1
	v_lshlrev_b32_e32 v8, 2, v18
	v_or_b32_e32 v2, 0xffffffc0, v18
	s_delay_alu instid0(VALU_DEP_2)
	v_or3_b32 v7, v7, v8, 0x4000
	v_mov_b32_e32 v8, -1
.LBB24_7:                               ; =>This Inner Loop Header: Depth=1
	s_delay_alu instid0(VALU_DEP_3)
	v_add_nc_u32_e32 v2, 64, v2
	ds_store_b32 v7, v8
	v_add_nc_u32_e32 v7, 0x100, v7
	v_cmp_lt_u32_e32 vcc_lo, 0x3bf, v2
	s_wait_alu 0xfffe
	s_or_b32 s2, vcc_lo, s2
	s_wait_alu 0xfffe
	s_and_not1_b32 exec_lo, exec_lo, s2
	s_cbranch_execnz .LBB24_7
; %bb.8:
	s_or_b32 exec_lo, exec_lo, s2
	s_load_b32 s2, s[0:1], 0x0
	s_lshl_b32 s3, ttmp9, 2
	s_wait_loadcnt_dscnt 0x0
	global_inv scope:SCOPE_SE
	s_wait_alu 0xfffe
	v_and_or_b32 v1, 0x3fffffc, s3, v1
	s_wait_kmcnt 0x0
	s_delay_alu instid0(VALU_DEP_1)
	v_cmp_gt_i32_e32 vcc_lo, s2, v1
	s_and_saveexec_b32 s2, vcc_lo
	s_cbranch_execz .LBB24_80
; %bb.9:
	s_load_b512 s[4:19], s[0:1], 0x8
	v_lshlrev_b32_e32 v1, 2, v1
	v_lshlrev_b32_e32 v0, 6, v0
	s_mov_b32 s2, exec_lo
	s_delay_alu instid0(VALU_DEP_1) | instskip(NEXT) | instid1(VALU_DEP_1)
	v_and_b32_e32 v0, 0x3000, v0
	v_or_b32_e32 v19, 0x4000, v0
	s_wait_kmcnt 0x0
	global_load_b32 v7, v1, s[14:15]
	s_wait_loadcnt 0x0
	v_ashrrev_i32_e32 v8, 31, v7
	s_delay_alu instid0(VALU_DEP_1) | instskip(NEXT) | instid1(VALU_DEP_1)
	v_lshlrev_b64_e32 v[1:2], 2, v[7:8]
	v_add_co_u32 v8, vcc_lo, s4, v1
	s_delay_alu instid0(VALU_DEP_1)
	v_add_co_ci_u32_e64 v9, null, s5, v2, vcc_lo
	v_add_co_u32 v11, vcc_lo, s10, v1
	s_wait_alu 0xfffd
	v_add_co_ci_u32_e64 v12, null, s11, v2, vcc_lo
	global_load_b64 v[9:10], v[8:9], off
	global_load_b32 v8, v[11:12], off
	s_wait_loadcnt 0x1
	v_subrev_nc_u32_e32 v9, s28, v9
	v_subrev_nc_u32_e32 v12, s28, v10
	s_delay_alu instid0(VALU_DEP_2) | instskip(NEXT) | instid1(VALU_DEP_1)
	v_add_nc_u32_e32 v10, v9, v18
	v_cmpx_lt_i32_e64 v10, v12
	s_cbranch_execz .LBB24_32
; %bb.10:
	v_mov_b32_e32 v13, -1
	s_mov_b32 s3, 0
	s_branch .LBB24_12
.LBB24_11:                              ;   in Loop: Header=BB24_12 Depth=1
	s_or_b32 exec_lo, exec_lo, s14
	v_add_nc_u32_e32 v10, 64, v10
	s_delay_alu instid0(VALU_DEP_1)
	v_cmp_ge_i32_e32 vcc_lo, v10, v12
	s_or_b32 s3, vcc_lo, s3
	s_wait_alu 0xfffe
	s_and_not1_b32 exec_lo, exec_lo, s3
	s_cbranch_execz .LBB24_32
.LBB24_12:                              ; =>This Loop Header: Depth=1
                                        ;     Child Loop BB24_21 Depth 2
	v_ashrrev_i32_e32 v11, 31, v10
	s_mov_b32 s14, 0
                                        ; implicit-def: $sgpr15
                                        ; implicit-def: $sgpr22
                                        ; implicit-def: $sgpr23
	s_delay_alu instid0(VALU_DEP_1) | instskip(NEXT) | instid1(VALU_DEP_1)
	v_lshlrev_b64_e32 v[14:15], 2, v[10:11]
	v_add_co_u32 v14, vcc_lo, s6, v14
	s_wait_alu 0xfffd
	s_delay_alu instid0(VALU_DEP_2)
	v_add_co_ci_u32_e64 v15, null, s7, v15, vcc_lo
	global_load_b32 v11, v[14:15], off
	v_mov_b32_e32 v14, 0x400
	s_wait_loadcnt 0x0
	v_mul_lo_u32 v16, 0x67, v11
	s_branch .LBB24_21
.LBB24_13:                              ;   in Loop: Header=BB24_21 Depth=2
	s_or_b32 exec_lo, exec_lo, s37
	s_delay_alu instid0(SALU_CYCLE_1)
	s_or_not1_b32 s35, s35, exec_lo
	s_or_not1_b32 s36, s36, exec_lo
.LBB24_14:                              ;   in Loop: Header=BB24_21 Depth=2
	s_or_b32 exec_lo, exec_lo, s34
	s_delay_alu instid0(SALU_CYCLE_1)
	s_and_b32 s35, s35, exec_lo
	s_or_not1_b32 s34, s36, exec_lo
.LBB24_15:                              ;   in Loop: Header=BB24_21 Depth=2
	s_or_b32 exec_lo, exec_lo, s33
	s_delay_alu instid0(SALU_CYCLE_1)
	s_or_not1_b32 s33, s35, exec_lo
	s_or_not1_b32 s34, s34, exec_lo
.LBB24_16:                              ;   in Loop: Header=BB24_21 Depth=2
	s_or_b32 exec_lo, exec_lo, s31
	s_delay_alu instid0(SALU_CYCLE_1)
	s_and_b32 s33, s33, exec_lo
	s_or_not1_b32 s31, s34, exec_lo
.LBB24_17:                              ;   in Loop: Header=BB24_21 Depth=2
	s_wait_alu 0xfffe
	s_or_b32 exec_lo, exec_lo, s27
	s_delay_alu instid0(SALU_CYCLE_1)
	s_or_not1_b32 s27, s33, exec_lo
	s_or_not1_b32 s31, s31, exec_lo
.LBB24_18:                              ;   in Loop: Header=BB24_21 Depth=2
	s_wait_alu 0xfffe
	s_or_b32 exec_lo, exec_lo, s26
	s_delay_alu instid0(SALU_CYCLE_1)
	s_and_b32 s27, s27, exec_lo
	s_or_not1_b32 s26, s31, exec_lo
.LBB24_19:                              ;   in Loop: Header=BB24_21 Depth=2
	s_wait_alu 0xfffe
	s_or_b32 exec_lo, exec_lo, s25
	s_delay_alu instid0(SALU_CYCLE_1)
	s_and_not1_b32 s23, s23, exec_lo
	s_and_b32 s25, s27, exec_lo
	s_and_not1_b32 s22, s22, exec_lo
	s_and_b32 s26, s26, exec_lo
	s_wait_alu 0xfffe
	s_or_b32 s23, s23, s25
	s_or_b32 s22, s22, s26
.LBB24_20:                              ;   in Loop: Header=BB24_21 Depth=2
	s_wait_alu 0xfffe
	s_or_b32 exec_lo, exec_lo, s24
	s_delay_alu instid0(SALU_CYCLE_1)
	s_and_b32 s24, exec_lo, s22
	s_wait_alu 0xfffe
	s_or_b32 s14, s24, s14
	s_and_not1_b32 s15, s15, exec_lo
	s_and_b32 s24, s23, exec_lo
	s_wait_alu 0xfffe
	s_or_b32 s15, s15, s24
	s_and_not1_b32 exec_lo, exec_lo, s14
	s_cbranch_execz .LBB24_30
.LBB24_21:                              ;   Parent Loop BB24_12 Depth=1
                                        ; =>  This Inner Loop Header: Depth=2
	s_delay_alu instid0(VALU_DEP_1) | instskip(SKIP_3) | instid1(VALU_DEP_1)
	v_and_b32_e32 v15, 0x3ff, v16
	s_or_b32 s23, s23, exec_lo
	s_or_b32 s22, s22, exec_lo
	s_mov_b32 s24, exec_lo
	v_lshl_add_u32 v17, v15, 2, v19
	ds_load_b32 v20, v17
	s_wait_dscnt 0x0
	v_cmpx_ne_u32_e64 v20, v11
	s_cbranch_execz .LBB24_20
; %bb.22:                               ;   in Loop: Header=BB24_21 Depth=2
	ds_cmpstore_rtn_b32 v17, v17, v11, v13
	s_mov_b32 s26, -1
	s_mov_b32 s27, 0
	s_mov_b32 s25, exec_lo
	s_wait_dscnt 0x0
	v_cmpx_ne_u32_e32 -1, v17
	s_cbranch_execz .LBB24_19
; %bb.23:                               ;   in Loop: Header=BB24_21 Depth=2
	v_add_nc_u32_e32 v15, 1, v16
	s_mov_b32 s31, -1
	s_mov_b32 s27, -1
	s_mov_b32 s26, exec_lo
	s_delay_alu instid0(VALU_DEP_1) | instskip(NEXT) | instid1(VALU_DEP_1)
	v_and_b32_e32 v15, 0x3ff, v15
	v_lshl_add_u32 v17, v15, 2, v19
	ds_load_b32 v20, v17
	s_wait_dscnt 0x0
	v_cmpx_ne_u32_e64 v20, v11
	s_cbranch_execz .LBB24_18
; %bb.24:                               ;   in Loop: Header=BB24_21 Depth=2
	ds_cmpstore_rtn_b32 v17, v17, v11, v13
	s_mov_b32 s33, 0
	s_mov_b32 s27, exec_lo
	s_wait_dscnt 0x0
	v_cmpx_ne_u32_e32 -1, v17
	s_cbranch_execz .LBB24_17
; %bb.25:                               ;   in Loop: Header=BB24_21 Depth=2
	v_add_nc_u32_e32 v15, 2, v16
	s_mov_b32 s34, -1
	s_mov_b32 s33, -1
	s_mov_b32 s31, exec_lo
	s_delay_alu instid0(VALU_DEP_1) | instskip(NEXT) | instid1(VALU_DEP_1)
	v_and_b32_e32 v15, 0x3ff, v15
	v_lshl_add_u32 v17, v15, 2, v19
	ds_load_b32 v20, v17
	s_wait_dscnt 0x0
	v_cmpx_ne_u32_e64 v20, v11
	s_cbranch_execz .LBB24_16
; %bb.26:                               ;   in Loop: Header=BB24_21 Depth=2
	ds_cmpstore_rtn_b32 v17, v17, v11, v13
	s_mov_b32 s35, 0
	s_mov_b32 s33, exec_lo
	s_wait_dscnt 0x0
	v_cmpx_ne_u32_e32 -1, v17
	s_cbranch_execz .LBB24_15
; %bb.27:                               ;   in Loop: Header=BB24_21 Depth=2
	v_add_nc_u32_e32 v15, 3, v16
	s_mov_b32 s36, -1
	s_mov_b32 s35, -1
	s_delay_alu instid0(VALU_DEP_1) | instskip(NEXT) | instid1(VALU_DEP_1)
	v_and_b32_e32 v15, 0x3ff, v15
	v_lshl_add_u32 v17, v15, 2, v19
	ds_load_b32 v16, v17
	s_wait_dscnt 0x0
	v_cmp_ne_u32_e32 vcc_lo, v16, v11
                                        ; implicit-def: $vgpr16
	s_and_saveexec_b32 s34, vcc_lo
	s_cbranch_execz .LBB24_14
; %bb.28:                               ;   in Loop: Header=BB24_21 Depth=2
	ds_cmpstore_rtn_b32 v16, v17, v11, v13
	s_mov_b32 s35, 0
	s_wait_dscnt 0x0
	v_cmp_ne_u32_e32 vcc_lo, -1, v16
                                        ; implicit-def: $vgpr16
	s_and_saveexec_b32 s37, vcc_lo
	s_cbranch_execz .LBB24_13
; %bb.29:                               ;   in Loop: Header=BB24_21 Depth=2
	v_add_nc_u32_e32 v14, -4, v14
	v_add_nc_u32_e32 v16, 1, v15
	s_mov_b32 s35, exec_lo
	s_delay_alu instid0(VALU_DEP_2)
	v_cmp_eq_u32_e32 vcc_lo, 0, v14
	s_or_not1_b32 s36, vcc_lo, exec_lo
	s_branch .LBB24_13
.LBB24_30:                              ;   in Loop: Header=BB24_12 Depth=1
	s_or_b32 exec_lo, exec_lo, s14
	s_xor_b32 s14, s15, -1
	s_delay_alu instid0(SALU_CYCLE_1) | instskip(NEXT) | instid1(SALU_CYCLE_1)
	s_and_saveexec_b32 s15, s14
	s_xor_b32 s14, exec_lo, s15
	s_cbranch_execz .LBB24_11
; %bb.31:                               ;   in Loop: Header=BB24_12 Depth=1
	v_lshl_add_u32 v11, v15, 2, v0
	ds_store_b32 v11, v10
	s_branch .LBB24_11
.LBB24_32:
	s_wait_alu 0xfffe
	s_or_b32 exec_lo, exec_lo, s2
	s_delay_alu instid0(SALU_CYCLE_1)
	s_mov_b32 s2, exec_lo
	s_wait_loadcnt_dscnt 0x0
	global_inv scope:SCOPE_SE
	v_cmpx_lt_i32_e64 v9, v8
	s_cbranch_execz .LBB24_62
; %bb.33:
	v_add_nc_u32_e32 v20, 1, v18
	s_mov_b32 s3, 0
	s_branch .LBB24_36
.LBB24_34:                              ;   in Loop: Header=BB24_36 Depth=1
	s_or_b32 exec_lo, exec_lo, s15
	v_add_nc_u32_e32 v9, 1, v9
	s_delay_alu instid0(VALU_DEP_1)
	v_cmp_ge_i32_e32 vcc_lo, v9, v8
	s_or_not1_b32 s15, vcc_lo, exec_lo
.LBB24_35:                              ;   in Loop: Header=BB24_36 Depth=1
	s_or_b32 exec_lo, exec_lo, s14
	s_delay_alu instid0(SALU_CYCLE_1)
	s_and_b32 s14, exec_lo, s15
	s_wait_alu 0xfffe
	s_or_b32 s3, s14, s3
	s_wait_alu 0xfffe
	s_and_not1_b32 exec_lo, exec_lo, s3
	s_cbranch_execz .LBB24_62
.LBB24_36:                              ; =>This Loop Header: Depth=1
                                        ;     Child Loop BB24_37 Depth 2
                                        ;     Child Loop BB24_42 Depth 2
                                        ;       Child Loop BB24_51 Depth 3
	v_ashrrev_i32_e32 v10, 31, v9
	s_mov_b32 s14, 0
	s_delay_alu instid0(VALU_DEP_1) | instskip(SKIP_1) | instid1(VALU_DEP_2)
	v_lshlrev_b64_e32 v[11:12], 2, v[9:10]
	v_lshlrev_b64_e32 v[13:14], 3, v[9:10]
	v_add_co_u32 v11, vcc_lo, s6, v11
	s_wait_alu 0xfffd
	s_delay_alu instid0(VALU_DEP_3) | instskip(NEXT) | instid1(VALU_DEP_3)
	v_add_co_ci_u32_e64 v12, null, s7, v12, vcc_lo
	v_add_co_u32 v13, vcc_lo, s8, v13
	s_wait_alu 0xfffd
	v_add_co_ci_u32_e64 v14, null, s9, v14, vcc_lo
	global_load_b32 v11, v[11:12], off
	s_wait_loadcnt 0x0
	v_subrev_nc_u32_e32 v11, s28, v11
	s_delay_alu instid0(VALU_DEP_1) | instskip(NEXT) | instid1(VALU_DEP_1)
	v_ashrrev_i32_e32 v12, 31, v11
	v_lshlrev_b64_e32 v[15:16], 2, v[11:12]
	s_delay_alu instid0(VALU_DEP_1) | instskip(SKIP_1) | instid1(VALU_DEP_2)
	v_add_co_u32 v21, vcc_lo, s4, v15
	s_wait_alu 0xfffd
	v_add_co_ci_u32_e64 v22, null, s5, v16, vcc_lo
	v_add_co_u32 v23, vcc_lo, s10, v15
	s_wait_alu 0xfffd
	v_add_co_ci_u32_e64 v24, null, s11, v16, vcc_lo
	global_load_b64 v[10:11], v[13:14], off
	global_load_b32 v12, v[21:22], off offset:4
	global_load_b32 v17, v[23:24], off
	v_add_co_u32 v15, vcc_lo, s12, v15
	s_wait_alu 0xfffd
	v_add_co_ci_u32_e64 v16, null, s13, v16, vcc_lo
.LBB24_37:                              ;   Parent Loop BB24_36 Depth=1
                                        ; =>  This Inner Loop Header: Depth=2
	global_load_b32 v21, v[15:16], off scope:SCOPE_DEV
	s_wait_loadcnt 0x0
	v_cmp_ne_u32_e32 vcc_lo, 0, v21
	s_or_b32 s14, vcc_lo, s14
	s_delay_alu instid0(SALU_CYCLE_1)
	s_and_not1_b32 exec_lo, exec_lo, s14
	s_cbranch_execnz .LBB24_37
; %bb.38:                               ;   in Loop: Header=BB24_36 Depth=1
	s_or_b32 exec_lo, exec_lo, s14
	v_subrev_nc_u32_e32 v21, s28, v12
	v_cmp_eq_u32_e32 vcc_lo, -1, v17
	global_inv scope:SCOPE_DEV
	s_mov_b32 s15, -1
	s_mov_b32 s14, exec_lo
	v_add_nc_u32_e32 v12, -1, v21
	s_wait_alu 0xfffd
	s_delay_alu instid0(VALU_DEP_1) | instskip(NEXT) | instid1(VALU_DEP_1)
	v_cndmask_b32_e32 v15, v17, v12, vcc_lo
	v_ashrrev_i32_e32 v16, 31, v15
	s_delay_alu instid0(VALU_DEP_1) | instskip(NEXT) | instid1(VALU_DEP_1)
	v_lshlrev_b64_e32 v[16:17], 3, v[15:16]
	v_add_co_u32 v16, vcc_lo, s8, v16
	s_wait_alu 0xfffd
	s_delay_alu instid0(VALU_DEP_2)
	v_add_co_ci_u32_e64 v17, null, s9, v17, vcc_lo
	global_load_b64 v[16:17], v[16:17], off
	s_wait_loadcnt 0x0
	v_cmpx_neq_f64_e32 0, v[16:17]
	s_cbranch_execz .LBB24_35
; %bb.39:                               ;   in Loop: Header=BB24_36 Depth=1
	v_div_scale_f64 v[22:23], null, v[16:17], v[16:17], v[10:11]
	v_add_nc_u32_e32 v12, v20, v15
	s_mov_b32 s15, exec_lo
	s_delay_alu instid0(VALU_DEP_2) | instskip(NEXT) | instid1(TRANS32_DEP_1)
	v_rcp_f64_e32 v[24:25], v[22:23]
	v_fma_f64 v[26:27], -v[22:23], v[24:25], 1.0
	s_delay_alu instid0(VALU_DEP_1) | instskip(NEXT) | instid1(VALU_DEP_1)
	v_fma_f64 v[24:25], v[24:25], v[26:27], v[24:25]
	v_fma_f64 v[26:27], -v[22:23], v[24:25], 1.0
	s_delay_alu instid0(VALU_DEP_1) | instskip(SKIP_1) | instid1(VALU_DEP_1)
	v_fma_f64 v[24:25], v[24:25], v[26:27], v[24:25]
	v_div_scale_f64 v[26:27], vcc_lo, v[10:11], v[16:17], v[10:11]
	v_mul_f64_e32 v[28:29], v[26:27], v[24:25]
	s_delay_alu instid0(VALU_DEP_1) | instskip(SKIP_1) | instid1(VALU_DEP_1)
	v_fma_f64 v[22:23], -v[22:23], v[28:29], v[26:27]
	s_wait_alu 0xfffd
	v_div_fmas_f64 v[22:23], v[22:23], v[24:25], v[28:29]
	s_delay_alu instid0(VALU_DEP_1)
	v_div_fixup_f64 v[10:11], v[22:23], v[16:17], v[10:11]
	global_store_b64 v[13:14], v[10:11], off
	v_cmpx_lt_i32_e64 v12, v21
	s_cbranch_execz .LBB24_34
; %bb.40:                               ;   in Loop: Header=BB24_36 Depth=1
	s_mov_b32 s22, 0
	s_branch .LBB24_42
.LBB24_41:                              ;   in Loop: Header=BB24_42 Depth=2
	s_or_b32 exec_lo, exec_lo, s23
	v_add_nc_u32_e32 v12, 64, v12
	s_delay_alu instid0(VALU_DEP_1) | instskip(SKIP_1) | instid1(SALU_CYCLE_1)
	v_cmp_ge_i32_e32 vcc_lo, v12, v21
	s_or_b32 s22, vcc_lo, s22
	s_and_not1_b32 exec_lo, exec_lo, s22
	s_cbranch_execz .LBB24_34
.LBB24_42:                              ;   Parent Loop BB24_36 Depth=1
                                        ; =>  This Loop Header: Depth=2
                                        ;       Child Loop BB24_51 Depth 3
	v_ashrrev_i32_e32 v13, 31, v12
	s_mov_b32 s23, 0
                                        ; implicit-def: $sgpr24
                                        ; implicit-def: $sgpr25
                                        ; implicit-def: $sgpr26
	s_delay_alu instid0(VALU_DEP_1) | instskip(NEXT) | instid1(VALU_DEP_1)
	v_lshlrev_b64_e32 v[14:15], 2, v[12:13]
	v_add_co_u32 v14, vcc_lo, s6, v14
	s_wait_alu 0xfffd
	s_delay_alu instid0(VALU_DEP_2)
	v_add_co_ci_u32_e64 v15, null, s7, v15, vcc_lo
	global_load_b32 v14, v[14:15], off
	v_mov_b32_e32 v15, 0x400
	s_wait_loadcnt 0x0
	v_mul_lo_u32 v17, 0x67, v14
	s_branch .LBB24_51
.LBB24_43:                              ;   in Loop: Header=BB24_51 Depth=3
	s_or_b32 exec_lo, exec_lo, s40
	s_delay_alu instid0(SALU_CYCLE_1)
	s_or_not1_b32 s38, s38, exec_lo
	s_or_not1_b32 s39, s39, exec_lo
.LBB24_44:                              ;   in Loop: Header=BB24_51 Depth=3
	s_or_b32 exec_lo, exec_lo, s37
	s_delay_alu instid0(SALU_CYCLE_1)
	s_and_b32 s38, s38, exec_lo
	s_or_not1_b32 s37, s39, exec_lo
.LBB24_45:                              ;   in Loop: Header=BB24_51 Depth=3
	s_or_b32 exec_lo, exec_lo, s36
	s_delay_alu instid0(SALU_CYCLE_1)
	s_or_not1_b32 s36, s38, exec_lo
	s_or_not1_b32 s37, s37, exec_lo
.LBB24_46:                              ;   in Loop: Header=BB24_51 Depth=3
	s_or_b32 exec_lo, exec_lo, s35
	s_delay_alu instid0(SALU_CYCLE_1)
	s_and_b32 s36, s36, exec_lo
	s_or_not1_b32 s35, s37, exec_lo
.LBB24_47:                              ;   in Loop: Header=BB24_51 Depth=3
	s_or_b32 exec_lo, exec_lo, s34
	s_delay_alu instid0(SALU_CYCLE_1)
	s_or_not1_b32 s34, s36, exec_lo
	s_or_not1_b32 s35, s35, exec_lo
.LBB24_48:                              ;   in Loop: Header=BB24_51 Depth=3
	s_or_b32 exec_lo, exec_lo, s33
	s_delay_alu instid0(SALU_CYCLE_1)
	s_and_b32 s34, s34, exec_lo
	s_or_not1_b32 s33, s35, exec_lo
.LBB24_49:                              ;   in Loop: Header=BB24_51 Depth=3
	s_or_b32 exec_lo, exec_lo, s31
	s_wait_alu 0xfffe
	s_and_not1_b32 s26, s26, exec_lo
	s_and_b32 s31, s34, exec_lo
	s_and_not1_b32 s25, s25, exec_lo
	s_and_b32 s33, s33, exec_lo
	s_wait_alu 0xfffe
	s_or_b32 s26, s26, s31
	s_or_b32 s25, s25, s33
.LBB24_50:                              ;   in Loop: Header=BB24_51 Depth=3
	s_wait_alu 0xfffe
	s_or_b32 exec_lo, exec_lo, s27
	s_delay_alu instid0(SALU_CYCLE_1)
	s_and_b32 s27, exec_lo, s25
	s_wait_alu 0xfffe
	s_or_b32 s23, s27, s23
	s_and_not1_b32 s24, s24, exec_lo
	s_and_b32 s27, s26, exec_lo
	s_wait_alu 0xfffe
	s_or_b32 s24, s24, s27
	s_and_not1_b32 exec_lo, exec_lo, s23
	s_cbranch_execz .LBB24_60
.LBB24_51:                              ;   Parent Loop BB24_36 Depth=1
                                        ;     Parent Loop BB24_42 Depth=2
                                        ; =>    This Inner Loop Header: Depth=3
	s_delay_alu instid0(VALU_DEP_1) | instskip(SKIP_3) | instid1(VALU_DEP_1)
	v_and_b32_e32 v16, 0x3ff, v17
	s_or_b32 s26, s26, exec_lo
	s_or_b32 s25, s25, exec_lo
	s_mov_b32 s27, exec_lo
	v_lshl_add_u32 v22, v16, 2, v19
	ds_load_b32 v22, v22
	s_wait_dscnt 0x0
	v_cmpx_ne_u32_e32 -1, v22
	s_cbranch_execz .LBB24_50
; %bb.52:                               ;   in Loop: Header=BB24_51 Depth=3
	s_mov_b32 s33, -1
	s_mov_b32 s34, 0
	s_mov_b32 s31, exec_lo
	v_cmpx_ne_u32_e64 v22, v14
	s_cbranch_execz .LBB24_49
; %bb.53:                               ;   in Loop: Header=BB24_51 Depth=3
	v_add_nc_u32_e32 v16, 1, v17
	s_mov_b32 s35, -1
	s_mov_b32 s34, -1
	s_mov_b32 s33, exec_lo
	s_delay_alu instid0(VALU_DEP_1) | instskip(NEXT) | instid1(VALU_DEP_1)
	v_and_b32_e32 v16, 0x3ff, v16
	v_lshl_add_u32 v22, v16, 2, v19
	ds_load_b32 v22, v22
	s_wait_dscnt 0x0
	v_cmpx_ne_u32_e32 -1, v22
	s_cbranch_execz .LBB24_48
; %bb.54:                               ;   in Loop: Header=BB24_51 Depth=3
	s_mov_b32 s36, 0
	s_mov_b32 s34, exec_lo
	v_cmpx_ne_u32_e64 v22, v14
	s_cbranch_execz .LBB24_47
; %bb.55:                               ;   in Loop: Header=BB24_51 Depth=3
	v_add_nc_u32_e32 v16, 2, v17
	s_mov_b32 s37, -1
	s_mov_b32 s36, -1
	s_mov_b32 s35, exec_lo
	s_delay_alu instid0(VALU_DEP_1) | instskip(NEXT) | instid1(VALU_DEP_1)
	v_and_b32_e32 v16, 0x3ff, v16
	v_lshl_add_u32 v22, v16, 2, v19
	ds_load_b32 v22, v22
	s_wait_dscnt 0x0
	v_cmpx_ne_u32_e32 -1, v22
	s_cbranch_execz .LBB24_46
; %bb.56:                               ;   in Loop: Header=BB24_51 Depth=3
	s_mov_b32 s38, 0
	s_mov_b32 s36, exec_lo
	v_cmpx_ne_u32_e64 v22, v14
	s_cbranch_execz .LBB24_45
; %bb.57:                               ;   in Loop: Header=BB24_51 Depth=3
	v_add_nc_u32_e32 v16, 3, v17
	s_mov_b32 s39, -1
	s_mov_b32 s38, -1
	s_mov_b32 s37, exec_lo
	s_delay_alu instid0(VALU_DEP_1) | instskip(NEXT) | instid1(VALU_DEP_1)
	v_and_b32_e32 v16, 0x3ff, v16
	v_lshl_add_u32 v17, v16, 2, v19
	ds_load_b32 v22, v17
                                        ; implicit-def: $vgpr17
	s_wait_dscnt 0x0
	v_cmpx_ne_u32_e32 -1, v22
	s_cbranch_execz .LBB24_44
; %bb.58:                               ;   in Loop: Header=BB24_51 Depth=3
	s_mov_b32 s38, 0
	s_mov_b32 s40, exec_lo
                                        ; implicit-def: $vgpr17
	v_cmpx_ne_u32_e64 v22, v14
	s_cbranch_execz .LBB24_43
; %bb.59:                               ;   in Loop: Header=BB24_51 Depth=3
	v_add_nc_u32_e32 v15, -4, v15
	v_add_nc_u32_e32 v17, 1, v16
	s_mov_b32 s38, exec_lo
	s_delay_alu instid0(VALU_DEP_2)
	v_cmp_eq_u32_e32 vcc_lo, 0, v15
	s_or_not1_b32 s39, vcc_lo, exec_lo
	s_branch .LBB24_43
.LBB24_60:                              ;   in Loop: Header=BB24_42 Depth=2
	s_or_b32 exec_lo, exec_lo, s23
	s_wait_alu 0xfffe
	s_xor_b32 s23, s24, -1
	s_delay_alu instid0(SALU_CYCLE_1)
	s_and_saveexec_b32 s24, s23
	s_wait_alu 0xfffe
	s_xor_b32 s23, exec_lo, s24
	s_cbranch_execz .LBB24_41
; %bb.61:                               ;   in Loop: Header=BB24_42 Depth=2
	v_lshl_add_u32 v14, v16, 2, v0
	v_lshlrev_b64_e32 v[16:17], 3, v[12:13]
	ds_load_b32 v14, v14
	s_wait_dscnt 0x0
	v_ashrrev_i32_e32 v15, 31, v14
	s_delay_alu instid0(VALU_DEP_1) | instskip(SKIP_3) | instid1(VALU_DEP_3)
	v_lshlrev_b64_e32 v[13:14], 3, v[14:15]
	v_add_co_u32 v15, vcc_lo, s8, v16
	s_wait_alu 0xfffd
	v_add_co_ci_u32_e64 v16, null, s9, v17, vcc_lo
	v_add_co_u32 v13, vcc_lo, s8, v13
	s_wait_alu 0xfffd
	v_add_co_ci_u32_e64 v14, null, s9, v14, vcc_lo
	s_clause 0x1
	global_load_b64 v[15:16], v[15:16], off
	global_load_b64 v[22:23], v[13:14], off
	s_wait_loadcnt 0x0
	v_fma_f64 v[15:16], -v[10:11], v[15:16], v[22:23]
	global_store_b64 v[13:14], v[15:16], off
	s_branch .LBB24_41
.LBB24_62:
	s_wait_alu 0xfffe
	s_or_b32 exec_lo, exec_lo, s2
	s_mov_b32 s4, -1
	s_mov_b32 s3, exec_lo
	s_wait_loadcnt 0x0
	s_wait_storecnt 0x0
	global_inv scope:SCOPE_SE
	v_cmpx_lt_i32_e32 -1, v8
	s_cbranch_execz .LBB24_78
; %bb.63:
	v_mov_b32_e32 v9, 0
	v_cmp_eq_u32_e64 s2, 0, v18
	s_delay_alu instid0(VALU_DEP_2) | instskip(NEXT) | instid1(VALU_DEP_1)
	v_lshlrev_b64_e32 v[8:9], 3, v[8:9]
	v_add_co_u32 v12, vcc_lo, s8, v8
	s_wait_alu 0xfffd
	s_delay_alu instid0(VALU_DEP_2)
	v_add_co_ci_u32_e64 v13, null, s9, v9, vcc_lo
	global_load_b64 v[8:9], v[12:13], off
	s_wait_loadcnt 0x0
	v_cmp_gt_f64_e32 vcc_lo, 0, v[8:9]
	v_xor_b32_e32 v0, 0x80000000, v9
	s_wait_alu 0xfffd
	s_delay_alu instid0(VALU_DEP_1)
	v_dual_mov_b32 v10, v8 :: v_dual_cndmask_b32 v11, v9, v0
	s_and_not1_b32 vcc_lo, exec_lo, s29
	s_wait_alu 0xfffe
	s_cbranch_vccnz .LBB24_67
; %bb.64:
	v_cvt_f64_f32_e32 v[14:15], s30
	s_cmp_eq_u64 s[20:21], 8
	s_cselect_b32 vcc_lo, -1, 0
	s_wait_alu 0xfffe
	s_delay_alu instid0(VALU_DEP_1) | instskip(NEXT) | instid1(VALU_DEP_1)
	v_dual_cndmask_b32 v4, v15, v4 :: v_dual_cndmask_b32 v3, v14, v3
	v_cmp_le_f64_e32 vcc_lo, v[10:11], v[3:4]
	s_and_b32 s5, s2, vcc_lo
	s_wait_alu 0xfffe
	s_and_saveexec_b32 s4, s5
	s_cbranch_execz .LBB24_66
; %bb.65:
	global_store_b64 v[12:13], v[5:6], off
	s_wait_storecnt 0x0
	global_inv scope:SCOPE_DEV
.LBB24_66:
	s_wait_alu 0xfffe
	s_or_b32 exec_lo, exec_lo, s4
	s_mov_b32 s4, 0
.LBB24_67:
	s_wait_alu 0xfffe
	s_and_not1_b32 vcc_lo, exec_lo, s4
	s_wait_alu 0xfffe
	s_cbranch_vccnz .LBB24_78
; %bb.68:
	s_load_b64 s[0:1], s[0:1], 0x48
	v_add_nc_u32_e32 v0, s28, v7
	s_wait_kmcnt 0x0
	v_cmp_ge_f64_e32 vcc_lo, s[0:1], v[10:11]
	s_and_b32 s1, s2, vcc_lo
	s_wait_alu 0xfffe
	s_and_saveexec_b32 s0, s1
	s_cbranch_execz .LBB24_73
; %bb.69:
	s_mov_b32 s4, exec_lo
	s_brev_b32 s1, -2
.LBB24_70:                              ; =>This Inner Loop Header: Depth=1
	s_wait_alu 0xfffe
	s_ctz_i32_b32 s5, s4
	s_wait_alu 0xfffe
	v_readlane_b32 s6, v0, s5
	s_lshl_b32 s5, 1, s5
	s_wait_alu 0xfffe
	s_and_not1_b32 s4, s4, s5
	s_min_i32 s1, s1, s6
	s_wait_alu 0xfffe
	s_cmp_lg_u32 s4, 0
	s_cbranch_scc1 .LBB24_70
; %bb.71:
	v_mbcnt_lo_u32_b32 v3, exec_lo, 0
	s_mov_b32 s4, exec_lo
	s_delay_alu instid0(VALU_DEP_1)
	v_cmpx_eq_u32_e32 0, v3
	s_wait_alu 0xfffe
	s_xor_b32 s4, exec_lo, s4
	s_cbranch_execz .LBB24_73
; %bb.72:
	v_dual_mov_b32 v3, 0 :: v_dual_mov_b32 v4, s1
	global_atomic_min_i32 v3, v4, s[18:19] scope:SCOPE_DEV
.LBB24_73:
	s_wait_alu 0xfffe
	s_or_b32 exec_lo, exec_lo, s0
	v_cmp_eq_f64_e32 vcc_lo, 0, v[8:9]
	s_and_b32 s0, s2, vcc_lo
	s_wait_alu 0xfffe
	s_and_b32 exec_lo, exec_lo, s0
	s_cbranch_execz .LBB24_78
; %bb.74:
	s_mov_b32 s1, exec_lo
	s_brev_b32 s0, -2
.LBB24_75:                              ; =>This Inner Loop Header: Depth=1
	s_wait_alu 0xfffe
	s_ctz_i32_b32 s2, s1
	s_wait_alu 0xfffe
	v_readlane_b32 s4, v0, s2
	s_lshl_b32 s2, 1, s2
	s_wait_alu 0xfffe
	s_and_not1_b32 s1, s1, s2
	s_min_i32 s0, s0, s4
	s_wait_alu 0xfffe
	s_cmp_lg_u32 s1, 0
	s_cbranch_scc1 .LBB24_75
; %bb.76:
	v_mbcnt_lo_u32_b32 v0, exec_lo, 0
	s_mov_b32 s1, exec_lo
	s_delay_alu instid0(VALU_DEP_1)
	v_cmpx_eq_u32_e32 0, v0
	s_wait_alu 0xfffe
	s_xor_b32 s1, exec_lo, s1
	s_cbranch_execz .LBB24_78
; %bb.77:
	v_dual_mov_b32 v0, 0 :: v_dual_mov_b32 v3, s0
	global_atomic_min_i32 v0, v3, s[16:17] scope:SCOPE_DEV
.LBB24_78:
	s_wait_alu 0xfffe
	s_or_b32 exec_lo, exec_lo, s3
	v_cmp_eq_u32_e32 vcc_lo, 0, v18
	s_wait_loadcnt 0x0
	s_wait_storecnt 0x0
	global_inv scope:SCOPE_DEV
	s_and_b32 exec_lo, exec_lo, vcc_lo
	s_cbranch_execz .LBB24_80
; %bb.79:
	v_add_co_u32 v0, vcc_lo, s12, v1
	s_wait_alu 0xfffd
	v_add_co_ci_u32_e64 v1, null, s13, v2, vcc_lo
	v_mov_b32_e32 v2, 1
	s_wait_loadcnt 0x0
	global_store_b32 v[0:1], v2, off scope:SCOPE_DEV
.LBB24_80:
	s_endpgm
	.section	.rodata,"a",@progbits
	.p2align	6, 0x0
	.amdhsa_kernel _ZN9rocsparseL12csrilu0_hashILj256ELj64ELj16EdEEviPKiS2_PT2_S2_PiS2_S5_S5_d21rocsparse_index_base_imNS_24const_host_device_scalarIfEENS7_IdEENS7_IS3_EEb
		.amdhsa_group_segment_fixed_size 32768
		.amdhsa_private_segment_fixed_size 0
		.amdhsa_kernarg_size 124
		.amdhsa_user_sgpr_count 2
		.amdhsa_user_sgpr_dispatch_ptr 0
		.amdhsa_user_sgpr_queue_ptr 0
		.amdhsa_user_sgpr_kernarg_segment_ptr 1
		.amdhsa_user_sgpr_dispatch_id 0
		.amdhsa_user_sgpr_private_segment_size 0
		.amdhsa_wavefront_size32 1
		.amdhsa_uses_dynamic_stack 0
		.amdhsa_enable_private_segment 0
		.amdhsa_system_sgpr_workgroup_id_x 1
		.amdhsa_system_sgpr_workgroup_id_y 0
		.amdhsa_system_sgpr_workgroup_id_z 0
		.amdhsa_system_sgpr_workgroup_info 0
		.amdhsa_system_vgpr_workitem_id 0
		.amdhsa_next_free_vgpr 169
		.amdhsa_next_free_sgpr 41
		.amdhsa_reserve_vcc 1
		.amdhsa_float_round_mode_32 0
		.amdhsa_float_round_mode_16_64 0
		.amdhsa_float_denorm_mode_32 3
		.amdhsa_float_denorm_mode_16_64 3
		.amdhsa_fp16_overflow 0
		.amdhsa_workgroup_processor_mode 1
		.amdhsa_memory_ordered 1
		.amdhsa_forward_progress 1
		.amdhsa_inst_pref_size 26
		.amdhsa_round_robin_scheduling 0
		.amdhsa_exception_fp_ieee_invalid_op 0
		.amdhsa_exception_fp_denorm_src 0
		.amdhsa_exception_fp_ieee_div_zero 0
		.amdhsa_exception_fp_ieee_overflow 0
		.amdhsa_exception_fp_ieee_underflow 0
		.amdhsa_exception_fp_ieee_inexact 0
		.amdhsa_exception_int_div_zero 0
	.end_amdhsa_kernel
	.section	.text._ZN9rocsparseL12csrilu0_hashILj256ELj64ELj16EdEEviPKiS2_PT2_S2_PiS2_S5_S5_d21rocsparse_index_base_imNS_24const_host_device_scalarIfEENS7_IdEENS7_IS3_EEb,"axG",@progbits,_ZN9rocsparseL12csrilu0_hashILj256ELj64ELj16EdEEviPKiS2_PT2_S2_PiS2_S5_S5_d21rocsparse_index_base_imNS_24const_host_device_scalarIfEENS7_IdEENS7_IS3_EEb,comdat
.Lfunc_end24:
	.size	_ZN9rocsparseL12csrilu0_hashILj256ELj64ELj16EdEEviPKiS2_PT2_S2_PiS2_S5_S5_d21rocsparse_index_base_imNS_24const_host_device_scalarIfEENS7_IdEENS7_IS3_EEb, .Lfunc_end24-_ZN9rocsparseL12csrilu0_hashILj256ELj64ELj16EdEEviPKiS2_PT2_S2_PiS2_S5_S5_d21rocsparse_index_base_imNS_24const_host_device_scalarIfEENS7_IdEENS7_IS3_EEb
                                        ; -- End function
	.set _ZN9rocsparseL12csrilu0_hashILj256ELj64ELj16EdEEviPKiS2_PT2_S2_PiS2_S5_S5_d21rocsparse_index_base_imNS_24const_host_device_scalarIfEENS7_IdEENS7_IS3_EEb.num_vgpr, 30
	.set _ZN9rocsparseL12csrilu0_hashILj256ELj64ELj16EdEEviPKiS2_PT2_S2_PiS2_S5_S5_d21rocsparse_index_base_imNS_24const_host_device_scalarIfEENS7_IdEENS7_IS3_EEb.num_agpr, 0
	.set _ZN9rocsparseL12csrilu0_hashILj256ELj64ELj16EdEEviPKiS2_PT2_S2_PiS2_S5_S5_d21rocsparse_index_base_imNS_24const_host_device_scalarIfEENS7_IdEENS7_IS3_EEb.numbered_sgpr, 41
	.set _ZN9rocsparseL12csrilu0_hashILj256ELj64ELj16EdEEviPKiS2_PT2_S2_PiS2_S5_S5_d21rocsparse_index_base_imNS_24const_host_device_scalarIfEENS7_IdEENS7_IS3_EEb.num_named_barrier, 0
	.set _ZN9rocsparseL12csrilu0_hashILj256ELj64ELj16EdEEviPKiS2_PT2_S2_PiS2_S5_S5_d21rocsparse_index_base_imNS_24const_host_device_scalarIfEENS7_IdEENS7_IS3_EEb.private_seg_size, 0
	.set _ZN9rocsparseL12csrilu0_hashILj256ELj64ELj16EdEEviPKiS2_PT2_S2_PiS2_S5_S5_d21rocsparse_index_base_imNS_24const_host_device_scalarIfEENS7_IdEENS7_IS3_EEb.uses_vcc, 1
	.set _ZN9rocsparseL12csrilu0_hashILj256ELj64ELj16EdEEviPKiS2_PT2_S2_PiS2_S5_S5_d21rocsparse_index_base_imNS_24const_host_device_scalarIfEENS7_IdEENS7_IS3_EEb.uses_flat_scratch, 0
	.set _ZN9rocsparseL12csrilu0_hashILj256ELj64ELj16EdEEviPKiS2_PT2_S2_PiS2_S5_S5_d21rocsparse_index_base_imNS_24const_host_device_scalarIfEENS7_IdEENS7_IS3_EEb.has_dyn_sized_stack, 0
	.set _ZN9rocsparseL12csrilu0_hashILj256ELj64ELj16EdEEviPKiS2_PT2_S2_PiS2_S5_S5_d21rocsparse_index_base_imNS_24const_host_device_scalarIfEENS7_IdEENS7_IS3_EEb.has_recursion, 0
	.set _ZN9rocsparseL12csrilu0_hashILj256ELj64ELj16EdEEviPKiS2_PT2_S2_PiS2_S5_S5_d21rocsparse_index_base_imNS_24const_host_device_scalarIfEENS7_IdEENS7_IS3_EEb.has_indirect_call, 0
	.section	.AMDGPU.csdata,"",@progbits
; Kernel info:
; codeLenInByte = 3264
; TotalNumSgprs: 43
; NumVgprs: 30
; ScratchSize: 0
; MemoryBound: 0
; FloatMode: 240
; IeeeMode: 1
; LDSByteSize: 32768 bytes/workgroup (compile time only)
; SGPRBlocks: 0
; VGPRBlocks: 21
; NumSGPRsForWavesPerEU: 43
; NumVGPRsForWavesPerEU: 169
; Occupancy: 8
; WaveLimiterHint : 1
; COMPUTE_PGM_RSRC2:SCRATCH_EN: 0
; COMPUTE_PGM_RSRC2:USER_SGPR: 2
; COMPUTE_PGM_RSRC2:TRAP_HANDLER: 0
; COMPUTE_PGM_RSRC2:TGID_X_EN: 1
; COMPUTE_PGM_RSRC2:TGID_Y_EN: 0
; COMPUTE_PGM_RSRC2:TGID_Z_EN: 0
; COMPUTE_PGM_RSRC2:TIDIG_COMP_CNT: 0
	.section	.text._ZN9rocsparseL17csrilu0_binsearchILj256ELj64ELb0EdEEviPKiS2_PT2_S2_PiS2_S5_S5_d21rocsparse_index_base_imNS_24const_host_device_scalarIfEENS7_IdEENS7_IS3_EEb,"axG",@progbits,_ZN9rocsparseL17csrilu0_binsearchILj256ELj64ELb0EdEEviPKiS2_PT2_S2_PiS2_S5_S5_d21rocsparse_index_base_imNS_24const_host_device_scalarIfEENS7_IdEENS7_IS3_EEb,comdat
	.globl	_ZN9rocsparseL17csrilu0_binsearchILj256ELj64ELb0EdEEviPKiS2_PT2_S2_PiS2_S5_S5_d21rocsparse_index_base_imNS_24const_host_device_scalarIfEENS7_IdEENS7_IS3_EEb ; -- Begin function _ZN9rocsparseL17csrilu0_binsearchILj256ELj64ELb0EdEEviPKiS2_PT2_S2_PiS2_S5_S5_d21rocsparse_index_base_imNS_24const_host_device_scalarIfEENS7_IdEENS7_IS3_EEb
	.p2align	8
	.type	_ZN9rocsparseL17csrilu0_binsearchILj256ELj64ELb0EdEEviPKiS2_PT2_S2_PiS2_S5_S5_d21rocsparse_index_base_imNS_24const_host_device_scalarIfEENS7_IdEENS7_IS3_EEb,@function
_ZN9rocsparseL17csrilu0_binsearchILj256ELj64ELb0EdEEviPKiS2_PT2_S2_PiS2_S5_S5_d21rocsparse_index_base_imNS_24const_host_device_scalarIfEENS7_IdEENS7_IS3_EEb: ; @_ZN9rocsparseL17csrilu0_binsearchILj256ELj64ELb0EdEEviPKiS2_PT2_S2_PiS2_S5_S5_d21rocsparse_index_base_imNS_24const_host_device_scalarIfEENS7_IdEENS7_IS3_EEb
; %bb.0:
	s_clause 0x2
	s_load_b32 s2, s[0:1], 0x78
	s_load_b64 s[28:29], s[0:1], 0x50
	s_load_b256 s[20:27], s[0:1], 0x58
	s_wait_kmcnt 0x0
	s_bitcmp1_b32 s2, 0
	s_cselect_b32 s2, -1, 0
	s_cmp_eq_u32 s29, 0
	s_cselect_b32 s4, -1, 0
	s_cmp_lg_u32 s29, 0
	s_cselect_b32 s29, -1, 0
	s_or_b32 s6, s4, s2
	s_delay_alu instid0(SALU_CYCLE_1)
	s_xor_b32 s5, s6, -1
	s_and_b32 s2, s4, exec_lo
	s_cselect_b32 s3, 0, s25
	s_cselect_b32 s2, 0, s24
	;; [unrolled: 1-line block ×3, first 2 shown]
	s_and_b32 vcc_lo, exec_lo, s6
	s_cbranch_vccnz .LBB25_2
; %bb.1:
	s_load_b32 s30, s[22:23], 0x0
	s_mov_b64 s[2:3], s[24:25]
.LBB25_2:
	v_cndmask_b32_e64 v1, 0, 1, s5
	v_dual_mov_b32 v4, s3 :: v_dual_mov_b32 v3, s2
	s_and_not1_b32 vcc_lo, exec_lo, s5
	s_cbranch_vccnz .LBB25_4
; %bb.3:
	v_dual_mov_b32 v2, s24 :: v_dual_mov_b32 v3, s25
	flat_load_b64 v[3:4], v[2:3]
.LBB25_4:
	s_and_b32 s2, s4, exec_lo
	s_cselect_b32 s3, 0, s27
	v_cmp_ne_u32_e32 vcc_lo, 1, v1
	s_cselect_b32 s2, 0, s26
	s_wait_alu 0xfffe
	v_dual_mov_b32 v6, s3 :: v_dual_mov_b32 v5, s2
	s_cbranch_vccnz .LBB25_6
; %bb.5:
	v_dual_mov_b32 v1, s26 :: v_dual_mov_b32 v2, s27
	flat_load_b64 v[5:6], v[1:2]
.LBB25_6:
	s_load_b32 s2, s[0:1], 0x0
	v_lshrrev_b32_e32 v1, 6, v0
	s_lshl_b32 s3, ttmp9, 2
	s_wait_alu 0xfffe
	s_delay_alu instid0(VALU_DEP_1) | instskip(SKIP_1) | instid1(VALU_DEP_1)
	v_and_or_b32 v1, 0x3fffffc, s3, v1
	s_wait_kmcnt 0x0
	v_cmp_gt_i32_e32 vcc_lo, s2, v1
	s_and_saveexec_b32 s2, vcc_lo
	s_cbranch_execz .LBB25_42
; %bb.7:
	s_load_b512 s[4:19], s[0:1], 0x8
	v_lshlrev_b32_e32 v1, 2, v1
	v_and_b32_e32 v0, 63, v0
	s_mov_b32 s2, exec_lo
	s_wait_kmcnt 0x0
	global_load_b32 v7, v1, s[14:15]
	s_wait_loadcnt 0x0
	v_ashrrev_i32_e32 v8, 31, v7
	s_delay_alu instid0(VALU_DEP_1) | instskip(NEXT) | instid1(VALU_DEP_1)
	v_lshlrev_b64_e32 v[1:2], 2, v[7:8]
	v_add_co_u32 v10, vcc_lo, s4, v1
	s_delay_alu instid0(VALU_DEP_1)
	v_add_co_ci_u32_e64 v11, null, s5, v2, vcc_lo
	v_add_co_u32 v8, vcc_lo, s10, v1
	s_wait_alu 0xfffd
	v_add_co_ci_u32_e64 v9, null, s11, v2, vcc_lo
	global_load_b32 v12, v[10:11], off
	global_load_b32 v8, v[8:9], off
	s_wait_loadcnt 0x1
	v_subrev_nc_u32_e32 v9, s28, v12
	s_wait_loadcnt 0x0
	s_delay_alu instid0(VALU_DEP_1)
	v_cmpx_lt_i32_e64 v9, v8
	s_cbranch_execz .LBB25_24
; %bb.8:
	global_load_b32 v10, v[10:11], off offset:4
	v_add_nc_u32_e32 v18, 1, v0
	s_mov_b32 s3, 0
	s_wait_loadcnt 0x0
	v_xad_u32 v19, s28, -1, v10
	s_branch .LBB25_11
.LBB25_9:                               ;   in Loop: Header=BB25_11 Depth=1
	s_or_b32 exec_lo, exec_lo, s15
	v_cmp_ge_i32_e32 vcc_lo, v9, v8
	s_or_not1_b32 s15, vcc_lo, exec_lo
.LBB25_10:                              ;   in Loop: Header=BB25_11 Depth=1
	s_or_b32 exec_lo, exec_lo, s14
	s_delay_alu instid0(SALU_CYCLE_1)
	s_and_b32 s14, exec_lo, s15
	s_wait_alu 0xfffe
	s_or_b32 s3, s14, s3
	s_wait_alu 0xfffe
	s_and_not1_b32 exec_lo, exec_lo, s3
	s_cbranch_execz .LBB25_24
.LBB25_11:                              ; =>This Loop Header: Depth=1
                                        ;     Child Loop BB25_13 Depth 2
                                        ;     Child Loop BB25_18 Depth 2
                                        ;       Child Loop BB25_20 Depth 3
	v_ashrrev_i32_e32 v10, 31, v9
	s_mov_b32 s14, exec_lo
	s_delay_alu instid0(VALU_DEP_1) | instskip(SKIP_1) | instid1(VALU_DEP_2)
	v_lshlrev_b64_e32 v[11:12], 2, v[9:10]
	v_lshlrev_b64_e32 v[13:14], 3, v[9:10]
	v_add_co_u32 v11, vcc_lo, s6, v11
	s_wait_alu 0xfffd
	s_delay_alu instid0(VALU_DEP_3) | instskip(NEXT) | instid1(VALU_DEP_3)
	v_add_co_ci_u32_e64 v12, null, s7, v12, vcc_lo
	v_add_co_u32 v13, vcc_lo, s8, v13
	s_wait_alu 0xfffd
	v_add_co_ci_u32_e64 v14, null, s9, v14, vcc_lo
	global_load_b32 v11, v[11:12], off
	s_wait_loadcnt 0x0
	v_subrev_nc_u32_e32 v11, s28, v11
	s_delay_alu instid0(VALU_DEP_1) | instskip(NEXT) | instid1(VALU_DEP_1)
	v_ashrrev_i32_e32 v12, 31, v11
	v_lshlrev_b64_e32 v[10:11], 2, v[11:12]
	s_delay_alu instid0(VALU_DEP_1) | instskip(SKIP_1) | instid1(VALU_DEP_2)
	v_add_co_u32 v20, vcc_lo, s4, v10
	s_wait_alu 0xfffd
	v_add_co_ci_u32_e64 v21, null, s5, v11, vcc_lo
	v_add_co_u32 v22, vcc_lo, s10, v10
	s_wait_alu 0xfffd
	v_add_co_ci_u32_e64 v23, null, s11, v11, vcc_lo
	;; [unrolled: 3-line block ×3, first 2 shown]
	global_load_b64 v[10:11], v[13:14], off
	global_load_b32 v17, v[20:21], off offset:4
	global_load_b32 v12, v[22:23], off
	global_load_b32 v20, v[15:16], off scope:SCOPE_DEV
	s_wait_loadcnt 0x0
	v_cmpx_eq_u32_e32 0, v20
	s_cbranch_execz .LBB25_14
; %bb.12:                               ;   in Loop: Header=BB25_11 Depth=1
	s_mov_b32 s15, 0
.LBB25_13:                              ;   Parent Loop BB25_11 Depth=1
                                        ; =>  This Inner Loop Header: Depth=2
	global_load_b32 v20, v[15:16], off scope:SCOPE_DEV
	s_wait_loadcnt 0x0
	v_cmp_ne_u32_e32 vcc_lo, 0, v20
	s_or_b32 s15, vcc_lo, s15
	s_delay_alu instid0(SALU_CYCLE_1)
	s_and_not1_b32 exec_lo, exec_lo, s15
	s_cbranch_execnz .LBB25_13
.LBB25_14:                              ;   in Loop: Header=BB25_11 Depth=1
	s_or_b32 exec_lo, exec_lo, s14
	v_subrev_nc_u32_e32 v20, s28, v17
	v_cmp_eq_u32_e32 vcc_lo, -1, v12
	s_wait_dscnt 0x0
	global_inv scope:SCOPE_DEV
	s_mov_b32 s15, -1
	s_mov_b32 s14, exec_lo
	v_add_nc_u32_e32 v15, -1, v20
	s_wait_alu 0xfffd
	s_delay_alu instid0(VALU_DEP_1) | instskip(NEXT) | instid1(VALU_DEP_1)
	v_cndmask_b32_e32 v15, v12, v15, vcc_lo
	v_ashrrev_i32_e32 v16, 31, v15
	s_delay_alu instid0(VALU_DEP_1) | instskip(NEXT) | instid1(VALU_DEP_1)
	v_lshlrev_b64_e32 v[16:17], 3, v[15:16]
	v_add_co_u32 v16, vcc_lo, s8, v16
	s_wait_alu 0xfffd
	s_delay_alu instid0(VALU_DEP_2)
	v_add_co_ci_u32_e64 v17, null, s9, v17, vcc_lo
	global_load_b64 v[16:17], v[16:17], off
	s_wait_loadcnt 0x0
	v_cmpx_neq_f64_e32 0, v[16:17]
	s_xor_b32 s14, exec_lo, s14
	s_cbranch_execz .LBB25_10
; %bb.15:                               ;   in Loop: Header=BB25_11 Depth=1
	v_div_scale_f64 v[21:22], null, v[16:17], v[16:17], v[10:11]
	v_add_nc_u32_e32 v12, v18, v15
	v_add_nc_u32_e32 v9, 1, v9
	s_mov_b32 s15, exec_lo
	s_delay_alu instid0(VALU_DEP_3) | instskip(NEXT) | instid1(TRANS32_DEP_1)
	v_rcp_f64_e32 v[23:24], v[21:22]
	v_fma_f64 v[25:26], -v[21:22], v[23:24], 1.0
	s_delay_alu instid0(VALU_DEP_1) | instskip(NEXT) | instid1(VALU_DEP_1)
	v_fma_f64 v[23:24], v[23:24], v[25:26], v[23:24]
	v_fma_f64 v[25:26], -v[21:22], v[23:24], 1.0
	s_delay_alu instid0(VALU_DEP_1) | instskip(SKIP_1) | instid1(VALU_DEP_1)
	v_fma_f64 v[23:24], v[23:24], v[25:26], v[23:24]
	v_div_scale_f64 v[25:26], vcc_lo, v[10:11], v[16:17], v[10:11]
	v_mul_f64_e32 v[27:28], v[25:26], v[23:24]
	s_delay_alu instid0(VALU_DEP_1) | instskip(SKIP_1) | instid1(VALU_DEP_1)
	v_fma_f64 v[21:22], -v[21:22], v[27:28], v[25:26]
	s_wait_alu 0xfffd
	v_div_fmas_f64 v[21:22], v[21:22], v[23:24], v[27:28]
	s_delay_alu instid0(VALU_DEP_1)
	v_div_fixup_f64 v[10:11], v[21:22], v[16:17], v[10:11]
	global_store_b64 v[13:14], v[10:11], off
	v_cmpx_lt_i32_e64 v12, v20
	s_cbranch_execz .LBB25_9
; %bb.16:                               ;   in Loop: Header=BB25_11 Depth=1
	v_mov_b32_e32 v14, v9
	s_mov_b32 s22, 0
	s_branch .LBB25_18
.LBB25_17:                              ;   in Loop: Header=BB25_18 Depth=2
	s_or_b32 exec_lo, exec_lo, s23
	v_add_nc_u32_e32 v12, 64, v12
	s_delay_alu instid0(VALU_DEP_1) | instskip(SKIP_1) | instid1(SALU_CYCLE_1)
	v_cmp_ge_i32_e32 vcc_lo, v12, v20
	s_or_b32 s22, vcc_lo, s22
	s_and_not1_b32 exec_lo, exec_lo, s22
	s_cbranch_execz .LBB25_9
.LBB25_18:                              ;   Parent Loop BB25_11 Depth=1
                                        ; =>  This Loop Header: Depth=2
                                        ;       Child Loop BB25_20 Depth 3
	s_delay_alu instid0(VALU_DEP_1) | instskip(SKIP_1) | instid1(VALU_DEP_1)
	v_add_nc_u32_e32 v13, v14, v19
	s_mov_b32 s23, exec_lo
	v_ashrrev_i32_e32 v15, 1, v13
	v_ashrrev_i32_e32 v13, 31, v12
	s_delay_alu instid0(VALU_DEP_2) | instskip(NEXT) | instid1(VALU_DEP_2)
	v_ashrrev_i32_e32 v16, 31, v15
	v_lshlrev_b64_e32 v[21:22], 2, v[12:13]
	s_delay_alu instid0(VALU_DEP_2) | instskip(NEXT) | instid1(VALU_DEP_2)
	v_lshlrev_b64_e32 v[16:17], 2, v[15:16]
	v_add_co_u32 v21, vcc_lo, s6, v21
	s_wait_alu 0xfffd
	s_delay_alu instid0(VALU_DEP_3) | instskip(NEXT) | instid1(VALU_DEP_3)
	v_add_co_ci_u32_e64 v22, null, s7, v22, vcc_lo
	v_add_co_u32 v23, vcc_lo, s6, v16
	s_wait_alu 0xfffd
	v_add_co_ci_u32_e64 v24, null, s7, v17, vcc_lo
	s_clause 0x1
	global_load_b32 v17, v[21:22], off
	global_load_b32 v16, v[23:24], off
	v_cmpx_lt_i32_e64 v14, v19
	s_cbranch_execz .LBB25_22
; %bb.19:                               ;   in Loop: Header=BB25_18 Depth=2
	v_mov_b32_e32 v21, v19
	s_mov_b32 s24, 0
.LBB25_20:                              ;   Parent Loop BB25_11 Depth=1
                                        ;     Parent Loop BB25_18 Depth=2
                                        ; =>    This Inner Loop Header: Depth=3
	s_wait_loadcnt 0x0
	v_cmp_lt_i32_e32 vcc_lo, v16, v17
	s_wait_alu 0xfffd
	v_dual_cndmask_b32 v21, v15, v21 :: v_dual_add_nc_u32 v22, 1, v15
	s_delay_alu instid0(VALU_DEP_1) | instskip(NEXT) | instid1(VALU_DEP_1)
	v_cndmask_b32_e32 v14, v14, v22, vcc_lo
	v_add_nc_u32_e32 v15, v21, v14
	s_delay_alu instid0(VALU_DEP_1) | instskip(NEXT) | instid1(VALU_DEP_1)
	v_ashrrev_i32_e32 v15, 1, v15
	v_ashrrev_i32_e32 v16, 31, v15
	s_delay_alu instid0(VALU_DEP_1) | instskip(NEXT) | instid1(VALU_DEP_1)
	v_lshlrev_b64_e32 v[22:23], 2, v[15:16]
	v_add_co_u32 v22, vcc_lo, s6, v22
	s_wait_alu 0xfffd
	s_delay_alu instid0(VALU_DEP_2)
	v_add_co_ci_u32_e64 v23, null, s7, v23, vcc_lo
	v_cmp_ge_i32_e32 vcc_lo, v14, v21
	global_load_b32 v16, v[22:23], off
	s_wait_alu 0xfffe
	s_or_b32 s24, vcc_lo, s24
	s_wait_alu 0xfffe
	s_and_not1_b32 exec_lo, exec_lo, s24
	s_cbranch_execnz .LBB25_20
; %bb.21:                               ;   in Loop: Header=BB25_18 Depth=2
	s_or_b32 exec_lo, exec_lo, s24
.LBB25_22:                              ;   in Loop: Header=BB25_18 Depth=2
	s_delay_alu instid0(SALU_CYCLE_1) | instskip(NEXT) | instid1(SALU_CYCLE_1)
	s_or_b32 exec_lo, exec_lo, s23
	s_mov_b32 s23, exec_lo
	s_wait_loadcnt 0x0
	v_cmpx_eq_u32_e64 v16, v17
	s_cbranch_execz .LBB25_17
; %bb.23:                               ;   in Loop: Header=BB25_18 Depth=2
	v_ashrrev_i32_e32 v15, 31, v14
	v_lshlrev_b64_e32 v[16:17], 3, v[12:13]
	s_delay_alu instid0(VALU_DEP_2) | instskip(NEXT) | instid1(VALU_DEP_2)
	v_lshlrev_b64_e32 v[21:22], 3, v[14:15]
	v_add_co_u32 v15, vcc_lo, s8, v16
	s_wait_alu 0xfffd
	s_delay_alu instid0(VALU_DEP_3) | instskip(NEXT) | instid1(VALU_DEP_3)
	v_add_co_ci_u32_e64 v16, null, s9, v17, vcc_lo
	v_add_co_u32 v21, vcc_lo, s8, v21
	s_wait_alu 0xfffd
	v_add_co_ci_u32_e64 v22, null, s9, v22, vcc_lo
	s_clause 0x1
	global_load_b64 v[15:16], v[15:16], off
	global_load_b64 v[23:24], v[21:22], off
	s_wait_loadcnt 0x0
	v_fma_f64 v[15:16], -v[10:11], v[15:16], v[23:24]
	global_store_b64 v[21:22], v[15:16], off
	s_branch .LBB25_17
.LBB25_24:
	s_wait_alu 0xfffe
	s_or_b32 exec_lo, exec_lo, s2
	s_mov_b32 s4, -1
	s_mov_b32 s3, exec_lo
	s_wait_storecnt_dscnt 0x0
	global_inv scope:SCOPE_SE
	v_cmpx_lt_i32_e32 -1, v8
	s_cbranch_execz .LBB25_40
; %bb.25:
	v_mov_b32_e32 v9, 0
	v_cmp_eq_u32_e64 s2, 0, v0
	s_delay_alu instid0(VALU_DEP_2) | instskip(NEXT) | instid1(VALU_DEP_1)
	v_lshlrev_b64_e32 v[8:9], 3, v[8:9]
	v_add_co_u32 v10, vcc_lo, s8, v8
	s_wait_alu 0xfffd
	s_delay_alu instid0(VALU_DEP_2)
	v_add_co_ci_u32_e64 v11, null, s9, v9, vcc_lo
	global_load_b64 v[8:9], v[10:11], off
	s_wait_loadcnt 0x0
	v_cmp_gt_f64_e32 vcc_lo, 0, v[8:9]
	v_xor_b32_e32 v13, 0x80000000, v9
	s_wait_alu 0xfffd
	s_delay_alu instid0(VALU_DEP_1)
	v_dual_mov_b32 v12, v8 :: v_dual_cndmask_b32 v13, v9, v13
	s_and_not1_b32 vcc_lo, exec_lo, s29
	s_wait_alu 0xfffe
	s_cbranch_vccnz .LBB25_29
; %bb.26:
	v_cvt_f64_f32_e32 v[14:15], s30
	s_cmp_eq_u64 s[20:21], 8
	s_cselect_b32 vcc_lo, -1, 0
	s_wait_alu 0xfffe
	s_delay_alu instid0(VALU_DEP_1) | instskip(NEXT) | instid1(VALU_DEP_1)
	v_dual_cndmask_b32 v4, v15, v4 :: v_dual_cndmask_b32 v3, v14, v3
	v_cmp_le_f64_e32 vcc_lo, v[12:13], v[3:4]
	s_and_b32 s5, s2, vcc_lo
	s_wait_alu 0xfffe
	s_and_saveexec_b32 s4, s5
	s_cbranch_execz .LBB25_28
; %bb.27:
	global_store_b64 v[10:11], v[5:6], off
.LBB25_28:
	s_wait_alu 0xfffe
	s_or_b32 exec_lo, exec_lo, s4
	s_mov_b32 s4, 0
.LBB25_29:
	s_wait_alu 0xfffe
	s_and_not1_b32 vcc_lo, exec_lo, s4
	s_wait_alu 0xfffe
	s_cbranch_vccnz .LBB25_40
; %bb.30:
	s_load_b64 s[0:1], s[0:1], 0x48
	v_add_nc_u32_e32 v3, s28, v7
	s_wait_kmcnt 0x0
	v_cmp_ge_f64_e32 vcc_lo, s[0:1], v[12:13]
	s_and_b32 s1, s2, vcc_lo
	s_wait_alu 0xfffe
	s_and_saveexec_b32 s0, s1
	s_cbranch_execz .LBB25_35
; %bb.31:
	s_mov_b32 s4, exec_lo
	s_brev_b32 s1, -2
.LBB25_32:                              ; =>This Inner Loop Header: Depth=1
	s_wait_alu 0xfffe
	s_ctz_i32_b32 s5, s4
	s_wait_alu 0xfffe
	v_readlane_b32 s6, v3, s5
	s_lshl_b32 s5, 1, s5
	s_wait_alu 0xfffe
	s_and_not1_b32 s4, s4, s5
	s_min_i32 s1, s1, s6
	s_wait_alu 0xfffe
	s_cmp_lg_u32 s4, 0
	s_cbranch_scc1 .LBB25_32
; %bb.33:
	v_mbcnt_lo_u32_b32 v4, exec_lo, 0
	s_mov_b32 s4, exec_lo
	s_delay_alu instid0(VALU_DEP_1)
	v_cmpx_eq_u32_e32 0, v4
	s_wait_alu 0xfffe
	s_xor_b32 s4, exec_lo, s4
	s_cbranch_execz .LBB25_35
; %bb.34:
	v_dual_mov_b32 v4, 0 :: v_dual_mov_b32 v5, s1
	global_atomic_min_i32 v4, v5, s[18:19] scope:SCOPE_DEV
.LBB25_35:
	s_wait_alu 0xfffe
	s_or_b32 exec_lo, exec_lo, s0
	v_cmp_eq_f64_e32 vcc_lo, 0, v[8:9]
	s_and_b32 s0, s2, vcc_lo
	s_wait_alu 0xfffe
	s_and_b32 exec_lo, exec_lo, s0
	s_cbranch_execz .LBB25_40
; %bb.36:
	s_mov_b32 s1, exec_lo
	s_brev_b32 s0, -2
.LBB25_37:                              ; =>This Inner Loop Header: Depth=1
	s_wait_alu 0xfffe
	s_ctz_i32_b32 s2, s1
	s_wait_alu 0xfffe
	v_readlane_b32 s4, v3, s2
	s_lshl_b32 s2, 1, s2
	s_wait_alu 0xfffe
	s_and_not1_b32 s1, s1, s2
	s_min_i32 s0, s0, s4
	s_wait_alu 0xfffe
	s_cmp_lg_u32 s1, 0
	s_cbranch_scc1 .LBB25_37
; %bb.38:
	v_mbcnt_lo_u32_b32 v3, exec_lo, 0
	s_mov_b32 s1, exec_lo
	s_delay_alu instid0(VALU_DEP_1)
	v_cmpx_eq_u32_e32 0, v3
	s_wait_alu 0xfffe
	s_xor_b32 s1, exec_lo, s1
	s_cbranch_execz .LBB25_40
; %bb.39:
	v_dual_mov_b32 v3, 0 :: v_dual_mov_b32 v4, s0
	global_atomic_min_i32 v3, v4, s[16:17] scope:SCOPE_DEV
.LBB25_40:
	s_wait_alu 0xfffe
	s_or_b32 exec_lo, exec_lo, s3
	v_cmp_eq_u32_e32 vcc_lo, 0, v0
	s_wait_loadcnt 0x0
	s_wait_storecnt 0x0
	global_inv scope:SCOPE_DEV
	s_and_b32 exec_lo, exec_lo, vcc_lo
	s_cbranch_execz .LBB25_42
; %bb.41:
	v_add_co_u32 v0, vcc_lo, s12, v1
	s_wait_alu 0xfffd
	v_add_co_ci_u32_e64 v1, null, s13, v2, vcc_lo
	v_mov_b32_e32 v2, 1
	s_wait_loadcnt 0x0
	global_store_b32 v[0:1], v2, off scope:SCOPE_DEV
.LBB25_42:
	s_endpgm
	.section	.rodata,"a",@progbits
	.p2align	6, 0x0
	.amdhsa_kernel _ZN9rocsparseL17csrilu0_binsearchILj256ELj64ELb0EdEEviPKiS2_PT2_S2_PiS2_S5_S5_d21rocsparse_index_base_imNS_24const_host_device_scalarIfEENS7_IdEENS7_IS3_EEb
		.amdhsa_group_segment_fixed_size 0
		.amdhsa_private_segment_fixed_size 0
		.amdhsa_kernarg_size 124
		.amdhsa_user_sgpr_count 2
		.amdhsa_user_sgpr_dispatch_ptr 0
		.amdhsa_user_sgpr_queue_ptr 0
		.amdhsa_user_sgpr_kernarg_segment_ptr 1
		.amdhsa_user_sgpr_dispatch_id 0
		.amdhsa_user_sgpr_private_segment_size 0
		.amdhsa_wavefront_size32 1
		.amdhsa_uses_dynamic_stack 0
		.amdhsa_enable_private_segment 0
		.amdhsa_system_sgpr_workgroup_id_x 1
		.amdhsa_system_sgpr_workgroup_id_y 0
		.amdhsa_system_sgpr_workgroup_id_z 0
		.amdhsa_system_sgpr_workgroup_info 0
		.amdhsa_system_vgpr_workitem_id 0
		.amdhsa_next_free_vgpr 29
		.amdhsa_next_free_sgpr 31
		.amdhsa_reserve_vcc 1
		.amdhsa_float_round_mode_32 0
		.amdhsa_float_round_mode_16_64 0
		.amdhsa_float_denorm_mode_32 3
		.amdhsa_float_denorm_mode_16_64 3
		.amdhsa_fp16_overflow 0
		.amdhsa_workgroup_processor_mode 1
		.amdhsa_memory_ordered 1
		.amdhsa_forward_progress 1
		.amdhsa_inst_pref_size 16
		.amdhsa_round_robin_scheduling 0
		.amdhsa_exception_fp_ieee_invalid_op 0
		.amdhsa_exception_fp_denorm_src 0
		.amdhsa_exception_fp_ieee_div_zero 0
		.amdhsa_exception_fp_ieee_overflow 0
		.amdhsa_exception_fp_ieee_underflow 0
		.amdhsa_exception_fp_ieee_inexact 0
		.amdhsa_exception_int_div_zero 0
	.end_amdhsa_kernel
	.section	.text._ZN9rocsparseL17csrilu0_binsearchILj256ELj64ELb0EdEEviPKiS2_PT2_S2_PiS2_S5_S5_d21rocsparse_index_base_imNS_24const_host_device_scalarIfEENS7_IdEENS7_IS3_EEb,"axG",@progbits,_ZN9rocsparseL17csrilu0_binsearchILj256ELj64ELb0EdEEviPKiS2_PT2_S2_PiS2_S5_S5_d21rocsparse_index_base_imNS_24const_host_device_scalarIfEENS7_IdEENS7_IS3_EEb,comdat
.Lfunc_end25:
	.size	_ZN9rocsparseL17csrilu0_binsearchILj256ELj64ELb0EdEEviPKiS2_PT2_S2_PiS2_S5_S5_d21rocsparse_index_base_imNS_24const_host_device_scalarIfEENS7_IdEENS7_IS3_EEb, .Lfunc_end25-_ZN9rocsparseL17csrilu0_binsearchILj256ELj64ELb0EdEEviPKiS2_PT2_S2_PiS2_S5_S5_d21rocsparse_index_base_imNS_24const_host_device_scalarIfEENS7_IdEENS7_IS3_EEb
                                        ; -- End function
	.set _ZN9rocsparseL17csrilu0_binsearchILj256ELj64ELb0EdEEviPKiS2_PT2_S2_PiS2_S5_S5_d21rocsparse_index_base_imNS_24const_host_device_scalarIfEENS7_IdEENS7_IS3_EEb.num_vgpr, 29
	.set _ZN9rocsparseL17csrilu0_binsearchILj256ELj64ELb0EdEEviPKiS2_PT2_S2_PiS2_S5_S5_d21rocsparse_index_base_imNS_24const_host_device_scalarIfEENS7_IdEENS7_IS3_EEb.num_agpr, 0
	.set _ZN9rocsparseL17csrilu0_binsearchILj256ELj64ELb0EdEEviPKiS2_PT2_S2_PiS2_S5_S5_d21rocsparse_index_base_imNS_24const_host_device_scalarIfEENS7_IdEENS7_IS3_EEb.numbered_sgpr, 31
	.set _ZN9rocsparseL17csrilu0_binsearchILj256ELj64ELb0EdEEviPKiS2_PT2_S2_PiS2_S5_S5_d21rocsparse_index_base_imNS_24const_host_device_scalarIfEENS7_IdEENS7_IS3_EEb.num_named_barrier, 0
	.set _ZN9rocsparseL17csrilu0_binsearchILj256ELj64ELb0EdEEviPKiS2_PT2_S2_PiS2_S5_S5_d21rocsparse_index_base_imNS_24const_host_device_scalarIfEENS7_IdEENS7_IS3_EEb.private_seg_size, 0
	.set _ZN9rocsparseL17csrilu0_binsearchILj256ELj64ELb0EdEEviPKiS2_PT2_S2_PiS2_S5_S5_d21rocsparse_index_base_imNS_24const_host_device_scalarIfEENS7_IdEENS7_IS3_EEb.uses_vcc, 1
	.set _ZN9rocsparseL17csrilu0_binsearchILj256ELj64ELb0EdEEviPKiS2_PT2_S2_PiS2_S5_S5_d21rocsparse_index_base_imNS_24const_host_device_scalarIfEENS7_IdEENS7_IS3_EEb.uses_flat_scratch, 0
	.set _ZN9rocsparseL17csrilu0_binsearchILj256ELj64ELb0EdEEviPKiS2_PT2_S2_PiS2_S5_S5_d21rocsparse_index_base_imNS_24const_host_device_scalarIfEENS7_IdEENS7_IS3_EEb.has_dyn_sized_stack, 0
	.set _ZN9rocsparseL17csrilu0_binsearchILj256ELj64ELb0EdEEviPKiS2_PT2_S2_PiS2_S5_S5_d21rocsparse_index_base_imNS_24const_host_device_scalarIfEENS7_IdEENS7_IS3_EEb.has_recursion, 0
	.set _ZN9rocsparseL17csrilu0_binsearchILj256ELj64ELb0EdEEviPKiS2_PT2_S2_PiS2_S5_S5_d21rocsparse_index_base_imNS_24const_host_device_scalarIfEENS7_IdEENS7_IS3_EEb.has_indirect_call, 0
	.section	.AMDGPU.csdata,"",@progbits
; Kernel info:
; codeLenInByte = 2016
; TotalNumSgprs: 33
; NumVgprs: 29
; ScratchSize: 0
; MemoryBound: 0
; FloatMode: 240
; IeeeMode: 1
; LDSByteSize: 0 bytes/workgroup (compile time only)
; SGPRBlocks: 0
; VGPRBlocks: 3
; NumSGPRsForWavesPerEU: 33
; NumVGPRsForWavesPerEU: 29
; Occupancy: 16
; WaveLimiterHint : 1
; COMPUTE_PGM_RSRC2:SCRATCH_EN: 0
; COMPUTE_PGM_RSRC2:USER_SGPR: 2
; COMPUTE_PGM_RSRC2:TRAP_HANDLER: 0
; COMPUTE_PGM_RSRC2:TGID_X_EN: 1
; COMPUTE_PGM_RSRC2:TGID_Y_EN: 0
; COMPUTE_PGM_RSRC2:TGID_Z_EN: 0
; COMPUTE_PGM_RSRC2:TIDIG_COMP_CNT: 0
	.section	.text._ZN9rocsparseL17csrilu0_binsearchILj256ELj64ELb1E21rocsparse_complex_numIfEEEviPKiS4_PT2_S4_PiS4_S7_S7_d21rocsparse_index_base_imNS_24const_host_device_scalarIfEENS9_IdEENS9_IS5_EEb,"axG",@progbits,_ZN9rocsparseL17csrilu0_binsearchILj256ELj64ELb1E21rocsparse_complex_numIfEEEviPKiS4_PT2_S4_PiS4_S7_S7_d21rocsparse_index_base_imNS_24const_host_device_scalarIfEENS9_IdEENS9_IS5_EEb,comdat
	.globl	_ZN9rocsparseL17csrilu0_binsearchILj256ELj64ELb1E21rocsparse_complex_numIfEEEviPKiS4_PT2_S4_PiS4_S7_S7_d21rocsparse_index_base_imNS_24const_host_device_scalarIfEENS9_IdEENS9_IS5_EEb ; -- Begin function _ZN9rocsparseL17csrilu0_binsearchILj256ELj64ELb1E21rocsparse_complex_numIfEEEviPKiS4_PT2_S4_PiS4_S7_S7_d21rocsparse_index_base_imNS_24const_host_device_scalarIfEENS9_IdEENS9_IS5_EEb
	.p2align	8
	.type	_ZN9rocsparseL17csrilu0_binsearchILj256ELj64ELb1E21rocsparse_complex_numIfEEEviPKiS4_PT2_S4_PiS4_S7_S7_d21rocsparse_index_base_imNS_24const_host_device_scalarIfEENS9_IdEENS9_IS5_EEb,@function
_ZN9rocsparseL17csrilu0_binsearchILj256ELj64ELb1E21rocsparse_complex_numIfEEEviPKiS4_PT2_S4_PiS4_S7_S7_d21rocsparse_index_base_imNS_24const_host_device_scalarIfEENS9_IdEENS9_IS5_EEb: ; @_ZN9rocsparseL17csrilu0_binsearchILj256ELj64ELb1E21rocsparse_complex_numIfEEEviPKiS4_PT2_S4_PiS4_S7_S7_d21rocsparse_index_base_imNS_24const_host_device_scalarIfEENS9_IdEENS9_IS5_EEb
; %bb.0:
	s_clause 0x2
	s_load_b32 s2, s[0:1], 0x78
	s_load_b64 s[28:29], s[0:1], 0x50
	s_load_b256 s[20:27], s[0:1], 0x58
	s_wait_kmcnt 0x0
	s_bitcmp1_b32 s2, 0
	s_cselect_b32 s4, -1, 0
	s_cmp_eq_u32 s29, 0
	s_cselect_b32 s2, -1, 0
	s_cmp_lg_u32 s29, 0
	s_cselect_b32 s5, -1, 0
	s_or_b32 s7, s2, s4
	s_delay_alu instid0(SALU_CYCLE_1)
	s_xor_b32 s6, s7, -1
	s_and_b32 s2, s2, exec_lo
	s_cselect_b32 s3, 0, s25
	s_cselect_b32 s2, 0, s24
	;; [unrolled: 1-line block ×3, first 2 shown]
	s_and_b32 vcc_lo, exec_lo, s7
	s_cbranch_vccnz .LBB26_2
; %bb.1:
	s_load_b32 s29, s[22:23], 0x0
	s_mov_b64 s[2:3], s[24:25]
.LBB26_2:
	s_delay_alu instid0(SALU_CYCLE_1)
	v_dual_mov_b32 v4, s3 :: v_dual_mov_b32 v3, s2
	s_and_not1_b32 vcc_lo, exec_lo, s6
	s_cbranch_vccnz .LBB26_4
; %bb.3:
	v_dual_mov_b32 v1, s24 :: v_dual_mov_b32 v2, s25
	flat_load_b64 v[3:4], v[1:2]
.LBB26_4:
	v_cndmask_b32_e64 v16, 0, 1, s5
	s_mov_b32 s3, 0
	s_and_not1_b32 vcc_lo, exec_lo, s5
	s_mov_b32 s22, 0
	s_cbranch_vccnz .LBB26_10
; %bb.5:
	s_xor_b32 s2, s4, -1
	s_mov_b32 s3, s26
	s_wait_alu 0xfffe
	v_cndmask_b32_e64 v1, 0, 1, s2
	s_and_not1_b32 vcc_lo, exec_lo, s2
	s_cbranch_vccnz .LBB26_7
; %bb.6:
	s_load_b32 s3, s[26:27], 0x0
.LBB26_7:
	s_delay_alu instid0(VALU_DEP_1)
	v_cmp_ne_u32_e32 vcc_lo, 1, v1
	s_cbranch_vccnz .LBB26_9
; %bb.8:
	s_load_b32 s27, s[26:27], 0x4
.LBB26_9:
	s_wait_kmcnt 0x0
	s_mov_b32 s22, s27
.LBB26_10:
	s_load_b32 s2, s[0:1], 0x0
	v_lshrrev_b32_e32 v1, 6, v0
	s_lshl_b32 s4, ttmp9, 2
	s_wait_alu 0xfffe
	s_delay_alu instid0(VALU_DEP_1) | instskip(SKIP_1) | instid1(VALU_DEP_1)
	v_and_or_b32 v1, 0x3fffffc, s4, v1
	s_wait_kmcnt 0x0
	v_cmp_gt_i32_e32 vcc_lo, s2, v1
	s_and_saveexec_b32 s2, vcc_lo
	s_cbranch_execz .LBB26_54
; %bb.11:
	s_load_b512 s[4:19], s[0:1], 0x8
	v_lshlrev_b32_e32 v1, 2, v1
	v_and_b32_e32 v0, 63, v0
	s_wait_kmcnt 0x0
	global_load_b32 v5, v1, s[14:15]
	s_mov_b32 s14, exec_lo
	s_wait_loadcnt 0x0
	v_ashrrev_i32_e32 v6, 31, v5
	s_delay_alu instid0(VALU_DEP_1) | instskip(NEXT) | instid1(VALU_DEP_1)
	v_lshlrev_b64_e32 v[1:2], 2, v[5:6]
	v_add_co_u32 v8, vcc_lo, s4, v1
	s_delay_alu instid0(VALU_DEP_1)
	v_add_co_ci_u32_e64 v9, null, s5, v2, vcc_lo
	v_add_co_u32 v6, vcc_lo, s10, v1
	s_wait_alu 0xfffd
	v_add_co_ci_u32_e64 v7, null, s11, v2, vcc_lo
	global_load_b32 v10, v[8:9], off
	global_load_b32 v6, v[6:7], off
	s_wait_loadcnt 0x1
	v_subrev_nc_u32_e32 v7, s28, v10
	s_wait_loadcnt 0x0
	s_delay_alu instid0(VALU_DEP_1)
	v_cmpx_lt_i32_e64 v7, v6
	s_cbranch_execz .LBB26_30
; %bb.12:
	global_load_b32 v8, v[8:9], off offset:4
	v_add_nc_u32_e32 v17, 1, v0
	s_mov_b32 s15, 0
	s_wait_loadcnt 0x0
	v_xad_u32 v18, s28, -1, v8
	s_branch .LBB26_15
.LBB26_13:                              ;   in Loop: Header=BB26_15 Depth=1
	s_or_b32 exec_lo, exec_lo, s23
	v_cmp_ge_i32_e32 vcc_lo, v7, v6
	s_or_not1_b32 s23, vcc_lo, exec_lo
.LBB26_14:                              ;   in Loop: Header=BB26_15 Depth=1
	s_wait_alu 0xfffe
	s_or_b32 exec_lo, exec_lo, s2
	s_delay_alu instid0(SALU_CYCLE_1) | instskip(SKIP_2) | instid1(SALU_CYCLE_1)
	s_and_b32 s2, exec_lo, s23
	s_wait_alu 0xfffe
	s_or_b32 s15, s2, s15
	s_and_not1_b32 exec_lo, exec_lo, s15
	s_cbranch_execz .LBB26_30
.LBB26_15:                              ; =>This Loop Header: Depth=1
                                        ;     Child Loop BB26_18 Depth 2
                                        ;       Child Loop BB26_19 Depth 3
                                        ;     Child Loop BB26_24 Depth 2
                                        ;       Child Loop BB26_26 Depth 3
	v_ashrrev_i32_e32 v8, 31, v7
	s_mov_b32 s2, exec_lo
	s_delay_alu instid0(VALU_DEP_1) | instskip(SKIP_1) | instid1(VALU_DEP_2)
	v_lshlrev_b64_e32 v[9:10], 2, v[7:8]
	v_lshlrev_b64_e32 v[12:13], 3, v[7:8]
	v_add_co_u32 v9, vcc_lo, s6, v9
	s_wait_alu 0xfffd
	s_delay_alu instid0(VALU_DEP_3) | instskip(NEXT) | instid1(VALU_DEP_3)
	v_add_co_ci_u32_e64 v10, null, s7, v10, vcc_lo
	v_add_co_u32 v12, vcc_lo, s8, v12
	s_wait_alu 0xfffd
	v_add_co_ci_u32_e64 v13, null, s9, v13, vcc_lo
	global_load_b32 v9, v[9:10], off
	s_wait_loadcnt 0x0
	v_subrev_nc_u32_e32 v9, s28, v9
	s_delay_alu instid0(VALU_DEP_1) | instskip(NEXT) | instid1(VALU_DEP_1)
	v_ashrrev_i32_e32 v10, 31, v9
	v_lshlrev_b64_e32 v[8:9], 2, v[9:10]
	s_delay_alu instid0(VALU_DEP_1) | instskip(SKIP_1) | instid1(VALU_DEP_2)
	v_add_co_u32 v14, vcc_lo, s4, v8
	s_wait_alu 0xfffd
	v_add_co_ci_u32_e64 v15, null, s5, v9, vcc_lo
	v_add_co_u32 v19, vcc_lo, s10, v8
	s_wait_alu 0xfffd
	v_add_co_ci_u32_e64 v20, null, s11, v9, vcc_lo
	;; [unrolled: 3-line block ×3, first 2 shown]
	global_load_b64 v[8:9], v[12:13], off
	global_load_b32 v15, v[14:15], off offset:4
	global_load_b32 v14, v[19:20], off
	global_load_b32 v19, v[10:11], off scope:SCOPE_DEV
	s_wait_loadcnt 0x0
	v_cmpx_eq_u32_e32 0, v19
	s_cbranch_execz .LBB26_20
; %bb.16:                               ;   in Loop: Header=BB26_15 Depth=1
	s_mov_b32 s23, 0
	s_mov_b32 s24, 0
	s_branch .LBB26_18
.LBB26_17:                              ;   in Loop: Header=BB26_18 Depth=2
	global_load_b32 v19, v[10:11], off scope:SCOPE_DEV
	s_cmp_lt_u32 s24, 0xf43
	s_cselect_b32 s25, -1, 0
	s_wait_alu 0xfffe
	s_cmp_lg_u32 s25, 0
	s_add_co_ci_u32 s24, s24, 0
	s_wait_loadcnt 0x0
	v_cmp_ne_u32_e32 vcc_lo, 0, v19
	s_or_b32 s23, vcc_lo, s23
	s_delay_alu instid0(SALU_CYCLE_1)
	s_and_not1_b32 exec_lo, exec_lo, s23
	s_cbranch_execz .LBB26_20
.LBB26_18:                              ;   Parent Loop BB26_15 Depth=1
                                        ; =>  This Loop Header: Depth=2
                                        ;       Child Loop BB26_19 Depth 3
	s_wait_alu 0xfffe
	s_cmp_eq_u32 s24, 0
	s_mov_b32 s25, s24
	s_cbranch_scc1 .LBB26_17
.LBB26_19:                              ;   Parent Loop BB26_15 Depth=1
                                        ;     Parent Loop BB26_18 Depth=2
                                        ; =>    This Inner Loop Header: Depth=3
	s_wait_alu 0xfffe
	s_add_co_i32 s25, s25, -1
	s_sleep 1
	s_wait_alu 0xfffe
	s_cmp_eq_u32 s25, 0
	s_cbranch_scc0 .LBB26_19
	s_branch .LBB26_17
.LBB26_20:                              ;   in Loop: Header=BB26_15 Depth=1
	s_wait_alu 0xfffe
	s_or_b32 exec_lo, exec_lo, s2
	v_subrev_nc_u32_e32 v19, s28, v15
	v_cmp_eq_u32_e32 vcc_lo, -1, v14
	s_wait_dscnt 0x0
	global_inv scope:SCOPE_DEV
	s_mov_b32 s23, -1
	v_add_nc_u32_e32 v10, -1, v19
	s_wait_alu 0xfffd
	s_delay_alu instid0(VALU_DEP_1) | instskip(NEXT) | instid1(VALU_DEP_1)
	v_cndmask_b32_e32 v10, v14, v10, vcc_lo
	v_ashrrev_i32_e32 v11, 31, v10
	s_delay_alu instid0(VALU_DEP_1) | instskip(NEXT) | instid1(VALU_DEP_1)
	v_lshlrev_b64_e32 v[14:15], 3, v[10:11]
	v_add_co_u32 v14, vcc_lo, s8, v14
	s_wait_alu 0xfffd
	s_delay_alu instid0(VALU_DEP_2)
	v_add_co_ci_u32_e64 v15, null, s9, v15, vcc_lo
	global_load_b64 v[14:15], v[14:15], off
	s_wait_loadcnt 0x0
	v_cmp_neq_f32_e32 vcc_lo, 0, v14
	v_cmp_neq_f32_e64 s2, 0, v15
	s_or_b32 s2, vcc_lo, s2
	s_wait_alu 0xfffe
	s_and_saveexec_b32 s24, s2
	s_wait_alu 0xfffe
	s_xor_b32 s2, exec_lo, s24
	s_cbranch_execz .LBB26_14
; %bb.21:                               ;   in Loop: Header=BB26_15 Depth=1
	v_mul_f32_e32 v11, v15, v15
	v_add_nc_u32_e32 v7, 1, v7
	s_mov_b32 s23, exec_lo
	s_delay_alu instid0(VALU_DEP_2) | instskip(NEXT) | instid1(VALU_DEP_1)
	v_fmac_f32_e32 v11, v14, v14
	v_div_scale_f32 v20, null, v11, v11, 1.0
	v_div_scale_f32 v23, vcc_lo, 1.0, v11, 1.0
	s_delay_alu instid0(VALU_DEP_2) | instskip(NEXT) | instid1(TRANS32_DEP_1)
	v_rcp_f32_e32 v21, v20
	v_fma_f32 v22, -v20, v21, 1.0
	s_delay_alu instid0(VALU_DEP_1) | instskip(NEXT) | instid1(VALU_DEP_1)
	v_fmac_f32_e32 v21, v22, v21
	v_mul_f32_e32 v22, v23, v21
	s_delay_alu instid0(VALU_DEP_1) | instskip(NEXT) | instid1(VALU_DEP_1)
	v_fma_f32 v24, -v20, v22, v23
	v_fmac_f32_e32 v22, v24, v21
	s_delay_alu instid0(VALU_DEP_1) | instskip(SKIP_2) | instid1(VALU_DEP_2)
	v_fma_f32 v20, -v20, v22, v23
	v_mul_f32_e32 v23, v9, v15
	v_mul_f32_e64 v15, v15, -v8
	v_fmac_f32_e32 v23, v8, v14
	v_add_nc_u32_e32 v8, v17, v10
	s_wait_alu 0xfffd
	v_div_fmas_f32 v20, v20, v21, v22
	s_delay_alu instid0(VALU_DEP_1) | instskip(NEXT) | instid1(VALU_DEP_1)
	v_div_fixup_f32 v11, v20, v11, 1.0
	v_dual_fmac_f32 v15, v9, v14 :: v_dual_mul_f32 v10, v23, v11
	s_delay_alu instid0(VALU_DEP_1)
	v_mul_f32_e32 v11, v15, v11
	global_store_b64 v[12:13], v[10:11], off
	v_cmpx_lt_i32_e64 v8, v19
	s_cbranch_execz .LBB26_13
; %bb.22:                               ;   in Loop: Header=BB26_15 Depth=1
	v_mov_b32_e32 v12, v7
	s_mov_b32 s24, 0
	s_branch .LBB26_24
.LBB26_23:                              ;   in Loop: Header=BB26_24 Depth=2
	s_wait_alu 0xfffe
	s_or_b32 exec_lo, exec_lo, s25
	v_add_nc_u32_e32 v8, 64, v8
	s_delay_alu instid0(VALU_DEP_1)
	v_cmp_ge_i32_e32 vcc_lo, v8, v19
	s_or_b32 s24, vcc_lo, s24
	s_wait_alu 0xfffe
	s_and_not1_b32 exec_lo, exec_lo, s24
	s_cbranch_execz .LBB26_13
.LBB26_24:                              ;   Parent Loop BB26_15 Depth=1
                                        ; =>  This Loop Header: Depth=2
                                        ;       Child Loop BB26_26 Depth 3
	s_delay_alu instid0(VALU_DEP_1) | instskip(SKIP_1) | instid1(VALU_DEP_1)
	v_add_nc_u32_e32 v9, v12, v18
	s_mov_b32 s25, exec_lo
	v_ashrrev_i32_e32 v13, 1, v9
	v_ashrrev_i32_e32 v9, 31, v8
	s_delay_alu instid0(VALU_DEP_2) | instskip(NEXT) | instid1(VALU_DEP_2)
	v_ashrrev_i32_e32 v14, 31, v13
	v_lshlrev_b64_e32 v[20:21], 2, v[8:9]
	s_delay_alu instid0(VALU_DEP_2) | instskip(NEXT) | instid1(VALU_DEP_2)
	v_lshlrev_b64_e32 v[14:15], 2, v[13:14]
	v_add_co_u32 v20, vcc_lo, s6, v20
	s_wait_alu 0xfffd
	s_delay_alu instid0(VALU_DEP_3) | instskip(NEXT) | instid1(VALU_DEP_3)
	v_add_co_ci_u32_e64 v21, null, s7, v21, vcc_lo
	v_add_co_u32 v22, vcc_lo, s6, v14
	s_wait_alu 0xfffd
	v_add_co_ci_u32_e64 v23, null, s7, v15, vcc_lo
	s_clause 0x1
	global_load_b32 v15, v[20:21], off
	global_load_b32 v14, v[22:23], off
	v_cmpx_lt_i32_e64 v12, v18
	s_cbranch_execz .LBB26_28
; %bb.25:                               ;   in Loop: Header=BB26_24 Depth=2
	v_mov_b32_e32 v20, v18
	s_mov_b32 s26, 0
.LBB26_26:                              ;   Parent Loop BB26_15 Depth=1
                                        ;     Parent Loop BB26_24 Depth=2
                                        ; =>    This Inner Loop Header: Depth=3
	s_wait_loadcnt 0x0
	v_cmp_lt_i32_e32 vcc_lo, v14, v15
	s_wait_alu 0xfffd
	v_dual_cndmask_b32 v20, v13, v20 :: v_dual_add_nc_u32 v21, 1, v13
	s_delay_alu instid0(VALU_DEP_1) | instskip(NEXT) | instid1(VALU_DEP_1)
	v_cndmask_b32_e32 v12, v12, v21, vcc_lo
	v_add_nc_u32_e32 v13, v20, v12
	s_delay_alu instid0(VALU_DEP_1) | instskip(NEXT) | instid1(VALU_DEP_1)
	v_ashrrev_i32_e32 v13, 1, v13
	v_ashrrev_i32_e32 v14, 31, v13
	s_delay_alu instid0(VALU_DEP_1) | instskip(NEXT) | instid1(VALU_DEP_1)
	v_lshlrev_b64_e32 v[21:22], 2, v[13:14]
	v_add_co_u32 v21, vcc_lo, s6, v21
	s_wait_alu 0xfffd
	s_delay_alu instid0(VALU_DEP_2) | instskip(SKIP_3) | instid1(SALU_CYCLE_1)
	v_add_co_ci_u32_e64 v22, null, s7, v22, vcc_lo
	v_cmp_ge_i32_e32 vcc_lo, v12, v20
	global_load_b32 v14, v[21:22], off
	s_or_b32 s26, vcc_lo, s26
	s_and_not1_b32 exec_lo, exec_lo, s26
	s_cbranch_execnz .LBB26_26
; %bb.27:                               ;   in Loop: Header=BB26_24 Depth=2
	s_or_b32 exec_lo, exec_lo, s26
.LBB26_28:                              ;   in Loop: Header=BB26_24 Depth=2
	s_wait_alu 0xfffe
	s_or_b32 exec_lo, exec_lo, s25
	s_delay_alu instid0(SALU_CYCLE_1)
	s_mov_b32 s25, exec_lo
	s_wait_loadcnt 0x0
	v_cmpx_eq_u32_e64 v14, v15
	s_cbranch_execz .LBB26_23
; %bb.29:                               ;   in Loop: Header=BB26_24 Depth=2
	v_ashrrev_i32_e32 v13, 31, v12
	v_lshlrev_b64_e32 v[14:15], 3, v[8:9]
	s_delay_alu instid0(VALU_DEP_2) | instskip(NEXT) | instid1(VALU_DEP_2)
	v_lshlrev_b64_e32 v[20:21], 3, v[12:13]
	v_add_co_u32 v13, vcc_lo, s8, v14
	s_wait_alu 0xfffd
	s_delay_alu instid0(VALU_DEP_3) | instskip(NEXT) | instid1(VALU_DEP_3)
	v_add_co_ci_u32_e64 v14, null, s9, v15, vcc_lo
	v_add_co_u32 v20, vcc_lo, s8, v20
	s_wait_alu 0xfffd
	v_add_co_ci_u32_e64 v21, null, s9, v21, vcc_lo
	s_clause 0x1
	global_load_b64 v[13:14], v[13:14], off
	global_load_b64 v[22:23], v[20:21], off
	s_wait_loadcnt 0x0
	v_fma_f32 v22, -v10, v13, v22
	v_fma_f32 v9, -v11, v13, v23
	s_delay_alu instid0(VALU_DEP_2) | instskip(NEXT) | instid1(VALU_DEP_2)
	v_fmac_f32_e32 v22, v11, v14
	v_fma_f32 v23, -v10, v14, v9
	global_store_b64 v[20:21], v[22:23], off
	s_branch .LBB26_23
.LBB26_30:
	s_or_b32 exec_lo, exec_lo, s14
	s_delay_alu instid0(SALU_CYCLE_1)
	s_mov_b32 s4, exec_lo
	s_wait_storecnt_dscnt 0x0
	global_inv scope:SCOPE_SE
	v_cmpx_lt_i32_e32 -1, v6
	s_cbranch_execz .LBB26_52
; %bb.31:
	v_mov_b32_e32 v7, 0
	s_mov_b32 s2, exec_lo
	s_delay_alu instid0(VALU_DEP_1) | instskip(NEXT) | instid1(VALU_DEP_1)
	v_lshlrev_b64_e32 v[8:9], 3, v[6:7]
	v_add_co_u32 v10, vcc_lo, s8, v8
	s_wait_alu 0xfffd
	s_delay_alu instid0(VALU_DEP_2)
	v_add_co_ci_u32_e64 v11, null, s9, v9, vcc_lo
	global_load_b64 v[8:9], v[10:11], off
	s_wait_loadcnt 0x0
	v_cmp_gt_f32_e32 vcc_lo, 0, v8
	s_wait_alu 0xfffd
	v_cndmask_b32_e64 v6, v8, -v8, vcc_lo
	v_cmp_gt_f32_e32 vcc_lo, 0, v9
	s_wait_alu 0xfffd
	v_cndmask_b32_e64 v12, v9, -v9, vcc_lo
	s_delay_alu instid0(VALU_DEP_1)
	v_cmpx_ngt_f32_e32 v6, v12
	s_wait_alu 0xfffe
	s_xor_b32 s5, exec_lo, s2
	s_cbranch_execz .LBB26_35
; %bb.32:
	s_mov_b32 s6, exec_lo
	v_cmpx_neq_f32_e32 0, v9
	s_cbranch_execz .LBB26_34
; %bb.33:
	v_div_scale_f32 v7, null, v12, v12, v6
	v_div_scale_f32 v15, vcc_lo, v6, v12, v6
	s_delay_alu instid0(VALU_DEP_2) | instskip(NEXT) | instid1(TRANS32_DEP_1)
	v_rcp_f32_e32 v13, v7
	v_fma_f32 v14, -v7, v13, 1.0
	s_delay_alu instid0(VALU_DEP_1) | instskip(NEXT) | instid1(VALU_DEP_1)
	v_fmac_f32_e32 v13, v14, v13
	v_mul_f32_e32 v14, v15, v13
	s_delay_alu instid0(VALU_DEP_1) | instskip(NEXT) | instid1(VALU_DEP_1)
	v_fma_f32 v17, -v7, v14, v15
	v_fmac_f32_e32 v14, v17, v13
	s_delay_alu instid0(VALU_DEP_1) | instskip(SKIP_1) | instid1(VALU_DEP_1)
	v_fma_f32 v7, -v7, v14, v15
	s_wait_alu 0xfffd
	v_div_fmas_f32 v7, v7, v13, v14
	s_delay_alu instid0(VALU_DEP_1) | instskip(NEXT) | instid1(VALU_DEP_1)
	v_div_fixup_f32 v6, v7, v12, v6
	v_fma_f32 v6, v6, v6, 1.0
	s_delay_alu instid0(VALU_DEP_1) | instskip(SKIP_2) | instid1(VALU_DEP_2)
	v_mul_f32_e32 v7, 0x4f800000, v6
	v_cmp_gt_f32_e32 vcc_lo, 0xf800000, v6
	s_wait_alu 0xfffd
	v_cndmask_b32_e32 v6, v6, v7, vcc_lo
	s_delay_alu instid0(VALU_DEP_1) | instskip(NEXT) | instid1(TRANS32_DEP_1)
	v_sqrt_f32_e32 v7, v6
	v_add_nc_u32_e32 v13, -1, v7
	v_add_nc_u32_e32 v14, 1, v7
	s_delay_alu instid0(VALU_DEP_2) | instskip(NEXT) | instid1(VALU_DEP_2)
	v_fma_f32 v15, -v13, v7, v6
	v_fma_f32 v17, -v14, v7, v6
	s_delay_alu instid0(VALU_DEP_2) | instskip(SKIP_1) | instid1(VALU_DEP_1)
	v_cmp_ge_f32_e64 s2, 0, v15
	s_wait_alu 0xf1ff
	v_cndmask_b32_e64 v7, v7, v13, s2
	s_delay_alu instid0(VALU_DEP_3) | instskip(SKIP_1) | instid1(VALU_DEP_1)
	v_cmp_lt_f32_e64 s2, 0, v17
	s_wait_alu 0xf1ff
	v_cndmask_b32_e64 v7, v7, v14, s2
	s_delay_alu instid0(VALU_DEP_1) | instskip(NEXT) | instid1(VALU_DEP_1)
	v_mul_f32_e32 v13, 0x37800000, v7
	v_cndmask_b32_e32 v7, v7, v13, vcc_lo
	v_cmp_class_f32_e64 vcc_lo, v6, 0x260
	s_wait_alu 0xfffd
	s_delay_alu instid0(VALU_DEP_2) | instskip(NEXT) | instid1(VALU_DEP_1)
	v_cndmask_b32_e32 v6, v7, v6, vcc_lo
	v_mul_f32_e32 v7, v12, v6
.LBB26_34:
	s_wait_alu 0xfffe
	s_or_b32 exec_lo, exec_lo, s6
                                        ; implicit-def: $vgpr6
                                        ; implicit-def: $vgpr12
.LBB26_35:
	s_wait_alu 0xfffe
	s_and_not1_saveexec_b32 s5, s5
	s_cbranch_execz .LBB26_37
; %bb.36:
	v_div_scale_f32 v7, null, v6, v6, v12
	v_div_scale_f32 v15, vcc_lo, v12, v6, v12
	s_delay_alu instid0(VALU_DEP_2) | instskip(NEXT) | instid1(TRANS32_DEP_1)
	v_rcp_f32_e32 v13, v7
	v_fma_f32 v14, -v7, v13, 1.0
	s_delay_alu instid0(VALU_DEP_1) | instskip(NEXT) | instid1(VALU_DEP_1)
	v_fmac_f32_e32 v13, v14, v13
	v_mul_f32_e32 v14, v15, v13
	s_delay_alu instid0(VALU_DEP_1) | instskip(NEXT) | instid1(VALU_DEP_1)
	v_fma_f32 v17, -v7, v14, v15
	v_fmac_f32_e32 v14, v17, v13
	s_delay_alu instid0(VALU_DEP_1) | instskip(SKIP_1) | instid1(VALU_DEP_1)
	v_fma_f32 v7, -v7, v14, v15
	s_wait_alu 0xfffd
	v_div_fmas_f32 v7, v7, v13, v14
	s_delay_alu instid0(VALU_DEP_1) | instskip(NEXT) | instid1(VALU_DEP_1)
	v_div_fixup_f32 v7, v7, v6, v12
	v_fma_f32 v7, v7, v7, 1.0
	s_delay_alu instid0(VALU_DEP_1) | instskip(SKIP_2) | instid1(VALU_DEP_2)
	v_mul_f32_e32 v12, 0x4f800000, v7
	v_cmp_gt_f32_e32 vcc_lo, 0xf800000, v7
	s_wait_alu 0xfffd
	v_cndmask_b32_e32 v7, v7, v12, vcc_lo
	s_delay_alu instid0(VALU_DEP_1) | instskip(NEXT) | instid1(TRANS32_DEP_1)
	v_sqrt_f32_e32 v12, v7
	v_add_nc_u32_e32 v13, -1, v12
	v_add_nc_u32_e32 v14, 1, v12
	s_delay_alu instid0(VALU_DEP_2) | instskip(NEXT) | instid1(VALU_DEP_2)
	v_fma_f32 v15, -v13, v12, v7
	v_fma_f32 v17, -v14, v12, v7
	s_delay_alu instid0(VALU_DEP_2) | instskip(SKIP_1) | instid1(VALU_DEP_1)
	v_cmp_ge_f32_e64 s2, 0, v15
	s_wait_alu 0xf1ff
	v_cndmask_b32_e64 v12, v12, v13, s2
	s_delay_alu instid0(VALU_DEP_3) | instskip(SKIP_1) | instid1(VALU_DEP_1)
	v_cmp_lt_f32_e64 s2, 0, v17
	s_wait_alu 0xf1ff
	v_cndmask_b32_e64 v12, v12, v14, s2
	s_delay_alu instid0(VALU_DEP_1) | instskip(NEXT) | instid1(VALU_DEP_1)
	v_mul_f32_e32 v13, 0x37800000, v12
	v_cndmask_b32_e32 v12, v12, v13, vcc_lo
	v_cmp_class_f32_e64 vcc_lo, v7, 0x260
	s_wait_alu 0xfffd
	s_delay_alu instid0(VALU_DEP_2) | instskip(NEXT) | instid1(VALU_DEP_1)
	v_cndmask_b32_e32 v7, v12, v7, vcc_lo
	v_mul_f32_e32 v7, v6, v7
.LBB26_37:
	s_wait_alu 0xfffe
	s_or_b32 exec_lo, exec_lo, s5
	s_delay_alu instid0(VALU_DEP_1)
	v_cvt_f64_f32_e32 v[6:7], v7
	v_cmp_ne_u32_e32 vcc_lo, 1, v16
	v_cmp_eq_u32_e64 s2, 0, v0
	s_mov_b32 s5, -1
	s_cbranch_vccnz .LBB26_41
; %bb.38:
	v_cvt_f64_f32_e32 v[12:13], s29
	s_cmp_eq_u64 s[20:21], 8
	s_cselect_b32 vcc_lo, -1, 0
	s_wait_alu 0xfffe
	s_delay_alu instid0(VALU_DEP_1) | instskip(NEXT) | instid1(VALU_DEP_1)
	v_dual_cndmask_b32 v4, v13, v4 :: v_dual_cndmask_b32 v3, v12, v3
	v_cmp_ge_f64_e32 vcc_lo, v[3:4], v[6:7]
	s_and_b32 s6, s2, vcc_lo
	s_wait_alu 0xfffe
	s_and_saveexec_b32 s5, s6
	s_cbranch_execz .LBB26_40
; %bb.39:
	v_dual_mov_b32 v3, s3 :: v_dual_mov_b32 v4, s22
	global_store_b64 v[10:11], v[3:4], off
.LBB26_40:
	s_wait_alu 0xfffe
	s_or_b32 exec_lo, exec_lo, s5
	s_mov_b32 s5, 0
.LBB26_41:
	s_wait_alu 0xfffe
	s_and_not1_b32 vcc_lo, exec_lo, s5
	s_wait_alu 0xfffe
	s_cbranch_vccnz .LBB26_52
; %bb.42:
	s_load_b64 s[0:1], s[0:1], 0x48
	v_add_nc_u32_e32 v3, s28, v5
	s_wait_kmcnt 0x0
	v_cmp_ge_f64_e32 vcc_lo, s[0:1], v[6:7]
	s_and_b32 s1, s2, vcc_lo
	s_wait_alu 0xfffe
	s_and_saveexec_b32 s0, s1
	s_cbranch_execz .LBB26_47
; %bb.43:
	s_mov_b32 s3, exec_lo
	s_brev_b32 s1, -2
.LBB26_44:                              ; =>This Inner Loop Header: Depth=1
	s_wait_alu 0xfffe
	s_ctz_i32_b32 s5, s3
	s_wait_alu 0xfffe
	v_readlane_b32 s6, v3, s5
	s_lshl_b32 s5, 1, s5
	s_wait_alu 0xfffe
	s_and_not1_b32 s3, s3, s5
	s_min_i32 s1, s1, s6
	s_wait_alu 0xfffe
	s_cmp_lg_u32 s3, 0
	s_cbranch_scc1 .LBB26_44
; %bb.45:
	v_mbcnt_lo_u32_b32 v4, exec_lo, 0
	s_mov_b32 s3, exec_lo
	s_delay_alu instid0(VALU_DEP_1)
	v_cmpx_eq_u32_e32 0, v4
	s_wait_alu 0xfffe
	s_xor_b32 s3, exec_lo, s3
	s_cbranch_execz .LBB26_47
; %bb.46:
	v_dual_mov_b32 v4, 0 :: v_dual_mov_b32 v5, s1
	global_atomic_min_i32 v4, v5, s[18:19] scope:SCOPE_DEV
.LBB26_47:
	s_wait_alu 0xfffe
	s_or_b32 exec_lo, exec_lo, s0
	v_cmp_eq_f32_e32 vcc_lo, 0, v8
	v_cmp_eq_f32_e64 s0, 0, v9
	s_and_b32 s0, vcc_lo, s0
	s_wait_alu 0xfffe
	s_and_b32 s0, s2, s0
	s_wait_alu 0xfffe
	s_and_b32 exec_lo, exec_lo, s0
	s_cbranch_execz .LBB26_52
; %bb.48:
	s_mov_b32 s1, exec_lo
	s_brev_b32 s0, -2
.LBB26_49:                              ; =>This Inner Loop Header: Depth=1
	s_wait_alu 0xfffe
	s_ctz_i32_b32 s2, s1
	s_wait_alu 0xfffe
	v_readlane_b32 s3, v3, s2
	s_lshl_b32 s2, 1, s2
	s_wait_alu 0xfffe
	s_and_not1_b32 s1, s1, s2
	s_min_i32 s0, s0, s3
	s_wait_alu 0xfffe
	s_cmp_lg_u32 s1, 0
	s_cbranch_scc1 .LBB26_49
; %bb.50:
	v_mbcnt_lo_u32_b32 v3, exec_lo, 0
	s_mov_b32 s1, exec_lo
	s_delay_alu instid0(VALU_DEP_1)
	v_cmpx_eq_u32_e32 0, v3
	s_wait_alu 0xfffe
	s_xor_b32 s1, exec_lo, s1
	s_cbranch_execz .LBB26_52
; %bb.51:
	v_dual_mov_b32 v3, 0 :: v_dual_mov_b32 v4, s0
	global_atomic_min_i32 v3, v4, s[16:17] scope:SCOPE_DEV
.LBB26_52:
	s_wait_alu 0xfffe
	s_or_b32 exec_lo, exec_lo, s4
	v_cmp_eq_u32_e32 vcc_lo, 0, v0
	s_wait_loadcnt 0x0
	s_wait_storecnt 0x0
	global_inv scope:SCOPE_DEV
	s_and_b32 exec_lo, exec_lo, vcc_lo
	s_cbranch_execz .LBB26_54
; %bb.53:
	v_add_co_u32 v0, vcc_lo, s12, v1
	s_wait_alu 0xfffd
	v_add_co_ci_u32_e64 v1, null, s13, v2, vcc_lo
	v_mov_b32_e32 v2, 1
	s_wait_loadcnt 0x0
	global_store_b32 v[0:1], v2, off scope:SCOPE_DEV
.LBB26_54:
	s_endpgm
	.section	.rodata,"a",@progbits
	.p2align	6, 0x0
	.amdhsa_kernel _ZN9rocsparseL17csrilu0_binsearchILj256ELj64ELb1E21rocsparse_complex_numIfEEEviPKiS4_PT2_S4_PiS4_S7_S7_d21rocsparse_index_base_imNS_24const_host_device_scalarIfEENS9_IdEENS9_IS5_EEb
		.amdhsa_group_segment_fixed_size 0
		.amdhsa_private_segment_fixed_size 0
		.amdhsa_kernarg_size 124
		.amdhsa_user_sgpr_count 2
		.amdhsa_user_sgpr_dispatch_ptr 0
		.amdhsa_user_sgpr_queue_ptr 0
		.amdhsa_user_sgpr_kernarg_segment_ptr 1
		.amdhsa_user_sgpr_dispatch_id 0
		.amdhsa_user_sgpr_private_segment_size 0
		.amdhsa_wavefront_size32 1
		.amdhsa_uses_dynamic_stack 0
		.amdhsa_enable_private_segment 0
		.amdhsa_system_sgpr_workgroup_id_x 1
		.amdhsa_system_sgpr_workgroup_id_y 0
		.amdhsa_system_sgpr_workgroup_id_z 0
		.amdhsa_system_sgpr_workgroup_info 0
		.amdhsa_system_vgpr_workitem_id 0
		.amdhsa_next_free_vgpr 25
		.amdhsa_next_free_sgpr 30
		.amdhsa_reserve_vcc 1
		.amdhsa_float_round_mode_32 0
		.amdhsa_float_round_mode_16_64 0
		.amdhsa_float_denorm_mode_32 3
		.amdhsa_float_denorm_mode_16_64 3
		.amdhsa_fp16_overflow 0
		.amdhsa_workgroup_processor_mode 1
		.amdhsa_memory_ordered 1
		.amdhsa_forward_progress 1
		.amdhsa_inst_pref_size 23
		.amdhsa_round_robin_scheduling 0
		.amdhsa_exception_fp_ieee_invalid_op 0
		.amdhsa_exception_fp_denorm_src 0
		.amdhsa_exception_fp_ieee_div_zero 0
		.amdhsa_exception_fp_ieee_overflow 0
		.amdhsa_exception_fp_ieee_underflow 0
		.amdhsa_exception_fp_ieee_inexact 0
		.amdhsa_exception_int_div_zero 0
	.end_amdhsa_kernel
	.section	.text._ZN9rocsparseL17csrilu0_binsearchILj256ELj64ELb1E21rocsparse_complex_numIfEEEviPKiS4_PT2_S4_PiS4_S7_S7_d21rocsparse_index_base_imNS_24const_host_device_scalarIfEENS9_IdEENS9_IS5_EEb,"axG",@progbits,_ZN9rocsparseL17csrilu0_binsearchILj256ELj64ELb1E21rocsparse_complex_numIfEEEviPKiS4_PT2_S4_PiS4_S7_S7_d21rocsparse_index_base_imNS_24const_host_device_scalarIfEENS9_IdEENS9_IS5_EEb,comdat
.Lfunc_end26:
	.size	_ZN9rocsparseL17csrilu0_binsearchILj256ELj64ELb1E21rocsparse_complex_numIfEEEviPKiS4_PT2_S4_PiS4_S7_S7_d21rocsparse_index_base_imNS_24const_host_device_scalarIfEENS9_IdEENS9_IS5_EEb, .Lfunc_end26-_ZN9rocsparseL17csrilu0_binsearchILj256ELj64ELb1E21rocsparse_complex_numIfEEEviPKiS4_PT2_S4_PiS4_S7_S7_d21rocsparse_index_base_imNS_24const_host_device_scalarIfEENS9_IdEENS9_IS5_EEb
                                        ; -- End function
	.set _ZN9rocsparseL17csrilu0_binsearchILj256ELj64ELb1E21rocsparse_complex_numIfEEEviPKiS4_PT2_S4_PiS4_S7_S7_d21rocsparse_index_base_imNS_24const_host_device_scalarIfEENS9_IdEENS9_IS5_EEb.num_vgpr, 25
	.set _ZN9rocsparseL17csrilu0_binsearchILj256ELj64ELb1E21rocsparse_complex_numIfEEEviPKiS4_PT2_S4_PiS4_S7_S7_d21rocsparse_index_base_imNS_24const_host_device_scalarIfEENS9_IdEENS9_IS5_EEb.num_agpr, 0
	.set _ZN9rocsparseL17csrilu0_binsearchILj256ELj64ELb1E21rocsparse_complex_numIfEEEviPKiS4_PT2_S4_PiS4_S7_S7_d21rocsparse_index_base_imNS_24const_host_device_scalarIfEENS9_IdEENS9_IS5_EEb.numbered_sgpr, 30
	.set _ZN9rocsparseL17csrilu0_binsearchILj256ELj64ELb1E21rocsparse_complex_numIfEEEviPKiS4_PT2_S4_PiS4_S7_S7_d21rocsparse_index_base_imNS_24const_host_device_scalarIfEENS9_IdEENS9_IS5_EEb.num_named_barrier, 0
	.set _ZN9rocsparseL17csrilu0_binsearchILj256ELj64ELb1E21rocsparse_complex_numIfEEEviPKiS4_PT2_S4_PiS4_S7_S7_d21rocsparse_index_base_imNS_24const_host_device_scalarIfEENS9_IdEENS9_IS5_EEb.private_seg_size, 0
	.set _ZN9rocsparseL17csrilu0_binsearchILj256ELj64ELb1E21rocsparse_complex_numIfEEEviPKiS4_PT2_S4_PiS4_S7_S7_d21rocsparse_index_base_imNS_24const_host_device_scalarIfEENS9_IdEENS9_IS5_EEb.uses_vcc, 1
	.set _ZN9rocsparseL17csrilu0_binsearchILj256ELj64ELb1E21rocsparse_complex_numIfEEEviPKiS4_PT2_S4_PiS4_S7_S7_d21rocsparse_index_base_imNS_24const_host_device_scalarIfEENS9_IdEENS9_IS5_EEb.uses_flat_scratch, 0
	.set _ZN9rocsparseL17csrilu0_binsearchILj256ELj64ELb1E21rocsparse_complex_numIfEEEviPKiS4_PT2_S4_PiS4_S7_S7_d21rocsparse_index_base_imNS_24const_host_device_scalarIfEENS9_IdEENS9_IS5_EEb.has_dyn_sized_stack, 0
	.set _ZN9rocsparseL17csrilu0_binsearchILj256ELj64ELb1E21rocsparse_complex_numIfEEEviPKiS4_PT2_S4_PiS4_S7_S7_d21rocsparse_index_base_imNS_24const_host_device_scalarIfEENS9_IdEENS9_IS5_EEb.has_recursion, 0
	.set _ZN9rocsparseL17csrilu0_binsearchILj256ELj64ELb1E21rocsparse_complex_numIfEEEviPKiS4_PT2_S4_PiS4_S7_S7_d21rocsparse_index_base_imNS_24const_host_device_scalarIfEENS9_IdEENS9_IS5_EEb.has_indirect_call, 0
	.section	.AMDGPU.csdata,"",@progbits
; Kernel info:
; codeLenInByte = 2828
; TotalNumSgprs: 32
; NumVgprs: 25
; ScratchSize: 0
; MemoryBound: 0
; FloatMode: 240
; IeeeMode: 1
; LDSByteSize: 0 bytes/workgroup (compile time only)
; SGPRBlocks: 0
; VGPRBlocks: 3
; NumSGPRsForWavesPerEU: 32
; NumVGPRsForWavesPerEU: 25
; Occupancy: 16
; WaveLimiterHint : 1
; COMPUTE_PGM_RSRC2:SCRATCH_EN: 0
; COMPUTE_PGM_RSRC2:USER_SGPR: 2
; COMPUTE_PGM_RSRC2:TRAP_HANDLER: 0
; COMPUTE_PGM_RSRC2:TGID_X_EN: 1
; COMPUTE_PGM_RSRC2:TGID_Y_EN: 0
; COMPUTE_PGM_RSRC2:TGID_Z_EN: 0
; COMPUTE_PGM_RSRC2:TIDIG_COMP_CNT: 0
	.section	.text._ZN9rocsparseL12csrilu0_hashILj256ELj32ELj1E21rocsparse_complex_numIfEEEviPKiS4_PT2_S4_PiS4_S7_S7_d21rocsparse_index_base_imNS_24const_host_device_scalarIfEENS9_IdEENS9_IS5_EEb,"axG",@progbits,_ZN9rocsparseL12csrilu0_hashILj256ELj32ELj1E21rocsparse_complex_numIfEEEviPKiS4_PT2_S4_PiS4_S7_S7_d21rocsparse_index_base_imNS_24const_host_device_scalarIfEENS9_IdEENS9_IS5_EEb,comdat
	.globl	_ZN9rocsparseL12csrilu0_hashILj256ELj32ELj1E21rocsparse_complex_numIfEEEviPKiS4_PT2_S4_PiS4_S7_S7_d21rocsparse_index_base_imNS_24const_host_device_scalarIfEENS9_IdEENS9_IS5_EEb ; -- Begin function _ZN9rocsparseL12csrilu0_hashILj256ELj32ELj1E21rocsparse_complex_numIfEEEviPKiS4_PT2_S4_PiS4_S7_S7_d21rocsparse_index_base_imNS_24const_host_device_scalarIfEENS9_IdEENS9_IS5_EEb
	.p2align	8
	.type	_ZN9rocsparseL12csrilu0_hashILj256ELj32ELj1E21rocsparse_complex_numIfEEEviPKiS4_PT2_S4_PiS4_S7_S7_d21rocsparse_index_base_imNS_24const_host_device_scalarIfEENS9_IdEENS9_IS5_EEb,@function
_ZN9rocsparseL12csrilu0_hashILj256ELj32ELj1E21rocsparse_complex_numIfEEEviPKiS4_PT2_S4_PiS4_S7_S7_d21rocsparse_index_base_imNS_24const_host_device_scalarIfEENS9_IdEENS9_IS5_EEb: ; @_ZN9rocsparseL12csrilu0_hashILj256ELj32ELj1E21rocsparse_complex_numIfEEEviPKiS4_PT2_S4_PiS4_S7_S7_d21rocsparse_index_base_imNS_24const_host_device_scalarIfEENS9_IdEENS9_IS5_EEb
; %bb.0:
	s_clause 0x2
	s_load_b32 s2, s[0:1], 0x78
	s_load_b64 s[28:29], s[0:1], 0x50
	s_load_b256 s[20:27], s[0:1], 0x58
	s_wait_kmcnt 0x0
	s_bitcmp1_b32 s2, 0
	s_cselect_b32 s4, -1, 0
	s_cmp_eq_u32 s29, 0
	s_cselect_b32 s2, -1, 0
	s_cmp_lg_u32 s29, 0
	s_cselect_b32 s5, -1, 0
	s_or_b32 s7, s2, s4
	s_delay_alu instid0(SALU_CYCLE_1)
	s_xor_b32 s6, s7, -1
	s_and_b32 s2, s2, exec_lo
	s_cselect_b32 s3, 0, s25
	s_cselect_b32 s2, 0, s24
	;; [unrolled: 1-line block ×3, first 2 shown]
	s_and_b32 vcc_lo, exec_lo, s7
	s_cbranch_vccnz .LBB27_2
; %bb.1:
	s_load_b32 s29, s[22:23], 0x0
	s_mov_b64 s[2:3], s[24:25]
.LBB27_2:
	s_delay_alu instid0(SALU_CYCLE_1)
	v_dual_mov_b32 v2, s2 :: v_dual_mov_b32 v3, s3
	s_and_not1_b32 vcc_lo, exec_lo, s6
	s_cbranch_vccnz .LBB27_4
; %bb.3:
	v_dual_mov_b32 v1, s24 :: v_dual_mov_b32 v2, s25
	flat_load_b64 v[2:3], v[1:2]
.LBB27_4:
	v_cndmask_b32_e64 v16, 0, 1, s5
	s_mov_b32 s3, 0
	s_and_not1_b32 vcc_lo, exec_lo, s5
	s_mov_b32 s22, 0
	s_cbranch_vccnz .LBB27_10
; %bb.5:
	s_xor_b32 s2, s4, -1
	s_mov_b32 s3, s26
	s_wait_alu 0xfffe
	v_cndmask_b32_e64 v1, 0, 1, s2
	s_and_not1_b32 vcc_lo, exec_lo, s2
	s_cbranch_vccnz .LBB27_7
; %bb.6:
	s_load_b32 s3, s[26:27], 0x0
.LBB27_7:
	s_delay_alu instid0(VALU_DEP_1)
	v_cmp_ne_u32_e32 vcc_lo, 1, v1
	s_cbranch_vccnz .LBB27_9
; %bb.8:
	s_load_b32 s27, s[26:27], 0x4
.LBB27_9:
	s_wait_kmcnt 0x0
	s_mov_b32 s22, s27
.LBB27_10:
	s_load_b32 s2, s[0:1], 0x0
	v_and_b32_e32 v8, 0xe0, v0
	v_lshrrev_b32_e32 v1, 5, v0
	s_lshl_b32 s4, ttmp9, 3
	v_dual_mov_b32 v4, -1 :: v_dual_and_b32 v15, 31, v0
	s_delay_alu instid0(VALU_DEP_3) | instskip(SKIP_2) | instid1(VALU_DEP_2)
	v_lshl_or_b32 v17, v8, 2, 0x400
	s_wait_alu 0xfffe
	v_and_or_b32 v0, 0x7fffff8, s4, v1
	v_lshl_or_b32 v1, v15, 2, v17
	ds_store_b32 v1, v4
	s_wait_loadcnt_dscnt 0x0
	global_inv scope:SCOPE_SE
	s_wait_kmcnt 0x0
	v_cmp_gt_i32_e32 vcc_lo, s2, v0
	s_and_saveexec_b32 s2, vcc_lo
	s_cbranch_execz .LBB27_88
; %bb.11:
	s_load_b512 s[4:19], s[0:1], 0x8
	v_lshlrev_b32_e32 v0, 2, v0
	v_lshlrev_b32_e32 v18, 2, v8
	s_mov_b32 s2, exec_lo
	s_wait_kmcnt 0x0
	global_load_b32 v4, v0, s[14:15]
	s_wait_loadcnt 0x0
	v_ashrrev_i32_e32 v5, 31, v4
	s_delay_alu instid0(VALU_DEP_1) | instskip(NEXT) | instid1(VALU_DEP_1)
	v_lshlrev_b64_e32 v[0:1], 2, v[4:5]
	v_add_co_u32 v5, vcc_lo, s4, v0
	s_delay_alu instid0(VALU_DEP_1)
	v_add_co_ci_u32_e64 v6, null, s5, v1, vcc_lo
	v_add_co_u32 v9, vcc_lo, s10, v0
	s_wait_alu 0xfffd
	v_add_co_ci_u32_e64 v10, null, s11, v1, vcc_lo
	global_load_b64 v[6:7], v[5:6], off
	global_load_b32 v5, v[9:10], off
	s_wait_loadcnt 0x1
	v_subrev_nc_u32_e32 v6, s28, v6
	v_subrev_nc_u32_e32 v9, s28, v7
	s_delay_alu instid0(VALU_DEP_2) | instskip(NEXT) | instid1(VALU_DEP_1)
	v_add_nc_u32_e32 v7, v6, v15
	v_cmpx_lt_i32_e64 v7, v9
	s_cbranch_execz .LBB27_34
; %bb.12:
	v_mov_b32_e32 v10, -1
	s_mov_b32 s14, 0
	s_branch .LBB27_14
.LBB27_13:                              ;   in Loop: Header=BB27_14 Depth=1
	s_or_b32 exec_lo, exec_lo, s15
	v_add_nc_u32_e32 v7, 32, v7
	s_delay_alu instid0(VALU_DEP_1) | instskip(SKIP_1) | instid1(SALU_CYCLE_1)
	v_cmp_ge_i32_e32 vcc_lo, v7, v9
	s_or_b32 s14, vcc_lo, s14
	s_and_not1_b32 exec_lo, exec_lo, s14
	s_cbranch_execz .LBB27_34
.LBB27_14:                              ; =>This Loop Header: Depth=1
                                        ;     Child Loop BB27_23 Depth 2
	v_ashrrev_i32_e32 v8, 31, v7
	s_mov_b32 s15, 0
                                        ; implicit-def: $sgpr23
                                        ; implicit-def: $sgpr24
                                        ; implicit-def: $sgpr25
	s_delay_alu instid0(VALU_DEP_1) | instskip(NEXT) | instid1(VALU_DEP_1)
	v_lshlrev_b64_e32 v[11:12], 2, v[7:8]
	v_add_co_u32 v11, vcc_lo, s6, v11
	s_wait_alu 0xfffd
	s_delay_alu instid0(VALU_DEP_2)
	v_add_co_ci_u32_e64 v12, null, s7, v12, vcc_lo
	global_load_b32 v8, v[11:12], off
	v_mov_b32_e32 v11, 32
	s_wait_loadcnt 0x0
	v_mul_lo_u32 v13, v8, 7
	s_branch .LBB27_23
.LBB27_15:                              ;   in Loop: Header=BB27_23 Depth=2
	s_or_b32 exec_lo, exec_lo, s38
	s_delay_alu instid0(SALU_CYCLE_1)
	s_or_not1_b32 s36, s36, exec_lo
	s_or_not1_b32 s37, s37, exec_lo
.LBB27_16:                              ;   in Loop: Header=BB27_23 Depth=2
	s_or_b32 exec_lo, exec_lo, s35
	s_delay_alu instid0(SALU_CYCLE_1)
	s_and_b32 s36, s36, exec_lo
	s_or_not1_b32 s35, s37, exec_lo
.LBB27_17:                              ;   in Loop: Header=BB27_23 Depth=2
	s_or_b32 exec_lo, exec_lo, s34
	s_delay_alu instid0(SALU_CYCLE_1)
	s_or_not1_b32 s34, s36, exec_lo
	s_or_not1_b32 s35, s35, exec_lo
.LBB27_18:                              ;   in Loop: Header=BB27_23 Depth=2
	s_or_b32 exec_lo, exec_lo, s33
	s_delay_alu instid0(SALU_CYCLE_1)
	s_and_b32 s34, s34, exec_lo
	s_or_not1_b32 s33, s35, exec_lo
.LBB27_19:                              ;   in Loop: Header=BB27_23 Depth=2
	s_or_b32 exec_lo, exec_lo, s31
	s_delay_alu instid0(SALU_CYCLE_1)
	s_or_not1_b32 s31, s34, exec_lo
	s_or_not1_b32 s33, s33, exec_lo
.LBB27_20:                              ;   in Loop: Header=BB27_23 Depth=2
	s_or_b32 exec_lo, exec_lo, s30
	s_delay_alu instid0(SALU_CYCLE_1)
	s_and_b32 s31, s31, exec_lo
	s_or_not1_b32 s30, s33, exec_lo
.LBB27_21:                              ;   in Loop: Header=BB27_23 Depth=2
	s_or_b32 exec_lo, exec_lo, s27
	s_wait_alu 0xfffe
	s_and_not1_b32 s25, s25, exec_lo
	s_and_b32 s27, s31, exec_lo
	s_and_not1_b32 s24, s24, exec_lo
	s_and_b32 s30, s30, exec_lo
	s_wait_alu 0xfffe
	s_or_b32 s25, s25, s27
	s_or_b32 s24, s24, s30
.LBB27_22:                              ;   in Loop: Header=BB27_23 Depth=2
	s_or_b32 exec_lo, exec_lo, s26
	s_wait_alu 0xfffe
	s_and_b32 s26, exec_lo, s24
	s_delay_alu instid0(SALU_CYCLE_1) | instskip(SKIP_2) | instid1(SALU_CYCLE_1)
	s_or_b32 s15, s26, s15
	s_and_not1_b32 s23, s23, exec_lo
	s_and_b32 s26, s25, exec_lo
	s_or_b32 s23, s23, s26
	s_and_not1_b32 exec_lo, exec_lo, s15
	s_cbranch_execz .LBB27_32
.LBB27_23:                              ;   Parent Loop BB27_14 Depth=1
                                        ; =>  This Inner Loop Header: Depth=2
	s_delay_alu instid0(VALU_DEP_1) | instskip(SKIP_3) | instid1(VALU_DEP_1)
	v_and_b32_e32 v12, 31, v13
	s_or_b32 s25, s25, exec_lo
	s_or_b32 s24, s24, exec_lo
	s_mov_b32 s26, exec_lo
	v_lshl_add_u32 v14, v12, 2, v17
	ds_load_b32 v19, v14
	s_wait_dscnt 0x0
	v_cmpx_ne_u32_e64 v19, v8
	s_cbranch_execz .LBB27_22
; %bb.24:                               ;   in Loop: Header=BB27_23 Depth=2
	ds_cmpstore_rtn_b32 v14, v14, v8, v10
	s_mov_b32 s30, -1
	s_mov_b32 s31, 0
	s_mov_b32 s27, exec_lo
	s_wait_dscnt 0x0
	v_cmpx_ne_u32_e32 -1, v14
	s_cbranch_execz .LBB27_21
; %bb.25:                               ;   in Loop: Header=BB27_23 Depth=2
	v_add_nc_u32_e32 v12, 1, v13
	s_mov_b32 s33, -1
	s_mov_b32 s31, -1
	s_mov_b32 s30, exec_lo
	s_delay_alu instid0(VALU_DEP_1) | instskip(NEXT) | instid1(VALU_DEP_1)
	v_and_b32_e32 v12, 31, v12
	v_lshl_add_u32 v14, v12, 2, v17
	ds_load_b32 v19, v14
	s_wait_dscnt 0x0
	v_cmpx_ne_u32_e64 v19, v8
	s_cbranch_execz .LBB27_20
; %bb.26:                               ;   in Loop: Header=BB27_23 Depth=2
	ds_cmpstore_rtn_b32 v14, v14, v8, v10
	s_mov_b32 s34, 0
	s_mov_b32 s31, exec_lo
	s_wait_dscnt 0x0
	v_cmpx_ne_u32_e32 -1, v14
	s_cbranch_execz .LBB27_19
; %bb.27:                               ;   in Loop: Header=BB27_23 Depth=2
	v_add_nc_u32_e32 v12, 2, v13
	s_mov_b32 s35, -1
	s_mov_b32 s34, -1
	s_mov_b32 s33, exec_lo
	s_delay_alu instid0(VALU_DEP_1) | instskip(NEXT) | instid1(VALU_DEP_1)
	v_and_b32_e32 v12, 31, v12
	v_lshl_add_u32 v14, v12, 2, v17
	ds_load_b32 v19, v14
	s_wait_dscnt 0x0
	v_cmpx_ne_u32_e64 v19, v8
	s_cbranch_execz .LBB27_18
; %bb.28:                               ;   in Loop: Header=BB27_23 Depth=2
	ds_cmpstore_rtn_b32 v14, v14, v8, v10
	s_mov_b32 s36, 0
	s_mov_b32 s34, exec_lo
	s_wait_dscnt 0x0
	v_cmpx_ne_u32_e32 -1, v14
	s_cbranch_execz .LBB27_17
; %bb.29:                               ;   in Loop: Header=BB27_23 Depth=2
	v_add_nc_u32_e32 v12, 3, v13
	s_mov_b32 s37, -1
	s_mov_b32 s36, -1
	s_delay_alu instid0(VALU_DEP_1) | instskip(NEXT) | instid1(VALU_DEP_1)
	v_and_b32_e32 v12, 31, v12
	v_lshl_add_u32 v14, v12, 2, v17
	ds_load_b32 v13, v14
	s_wait_dscnt 0x0
	v_cmp_ne_u32_e32 vcc_lo, v13, v8
                                        ; implicit-def: $vgpr13
	s_and_saveexec_b32 s35, vcc_lo
	s_cbranch_execz .LBB27_16
; %bb.30:                               ;   in Loop: Header=BB27_23 Depth=2
	ds_cmpstore_rtn_b32 v13, v14, v8, v10
	s_mov_b32 s36, 0
	s_wait_dscnt 0x0
	v_cmp_ne_u32_e32 vcc_lo, -1, v13
                                        ; implicit-def: $vgpr13
	s_and_saveexec_b32 s38, vcc_lo
	s_cbranch_execz .LBB27_15
; %bb.31:                               ;   in Loop: Header=BB27_23 Depth=2
	v_add_nc_u32_e32 v11, -4, v11
	v_add_nc_u32_e32 v13, 1, v12
	s_mov_b32 s36, exec_lo
	s_delay_alu instid0(VALU_DEP_2)
	v_cmp_eq_u32_e32 vcc_lo, 0, v11
	s_or_not1_b32 s37, vcc_lo, exec_lo
	s_branch .LBB27_15
.LBB27_32:                              ;   in Loop: Header=BB27_14 Depth=1
	s_or_b32 exec_lo, exec_lo, s15
	s_xor_b32 s15, s23, -1
	s_delay_alu instid0(SALU_CYCLE_1) | instskip(NEXT) | instid1(SALU_CYCLE_1)
	s_and_saveexec_b32 s23, s15
	s_xor_b32 s15, exec_lo, s23
	s_cbranch_execz .LBB27_13
; %bb.33:                               ;   in Loop: Header=BB27_14 Depth=1
	v_lshl_add_u32 v8, v12, 2, v18
	ds_store_b32 v8, v7
	s_branch .LBB27_13
.LBB27_34:
	s_wait_alu 0xfffe
	s_or_b32 exec_lo, exec_lo, s2
	s_delay_alu instid0(SALU_CYCLE_1)
	s_mov_b32 s14, exec_lo
	s_wait_loadcnt_dscnt 0x0
	global_inv scope:SCOPE_SE
	v_cmpx_lt_i32_e64 v6, v5
	s_cbranch_execz .LBB27_64
; %bb.35:
	v_add_nc_u32_e32 v19, 1, v15
	s_mov_b32 s15, 0
	s_branch .LBB27_38
.LBB27_36:                              ;   in Loop: Header=BB27_38 Depth=1
	s_or_b32 exec_lo, exec_lo, s23
	v_add_nc_u32_e32 v6, 1, v6
	s_delay_alu instid0(VALU_DEP_1)
	v_cmp_ge_i32_e32 vcc_lo, v6, v5
	s_or_not1_b32 s23, vcc_lo, exec_lo
.LBB27_37:                              ;   in Loop: Header=BB27_38 Depth=1
	s_wait_alu 0xfffe
	s_or_b32 exec_lo, exec_lo, s2
	s_delay_alu instid0(SALU_CYCLE_1) | instskip(SKIP_2) | instid1(SALU_CYCLE_1)
	s_and_b32 s2, exec_lo, s23
	s_wait_alu 0xfffe
	s_or_b32 s15, s2, s15
	s_and_not1_b32 exec_lo, exec_lo, s15
	s_cbranch_execz .LBB27_64
.LBB27_38:                              ; =>This Loop Header: Depth=1
                                        ;     Child Loop BB27_39 Depth 2
                                        ;     Child Loop BB27_44 Depth 2
                                        ;       Child Loop BB27_53 Depth 3
	v_ashrrev_i32_e32 v7, 31, v6
	s_mov_b32 s2, 0
	s_delay_alu instid0(VALU_DEP_1) | instskip(SKIP_1) | instid1(VALU_DEP_2)
	v_lshlrev_b64_e32 v[8:9], 2, v[6:7]
	v_lshlrev_b64_e32 v[11:12], 3, v[6:7]
	v_add_co_u32 v8, vcc_lo, s6, v8
	s_wait_alu 0xfffd
	s_delay_alu instid0(VALU_DEP_3) | instskip(NEXT) | instid1(VALU_DEP_3)
	v_add_co_ci_u32_e64 v9, null, s7, v9, vcc_lo
	v_add_co_u32 v11, vcc_lo, s8, v11
	s_wait_alu 0xfffd
	v_add_co_ci_u32_e64 v12, null, s9, v12, vcc_lo
	global_load_b32 v8, v[8:9], off
	s_wait_loadcnt 0x0
	v_subrev_nc_u32_e32 v8, s28, v8
	s_delay_alu instid0(VALU_DEP_1) | instskip(NEXT) | instid1(VALU_DEP_1)
	v_ashrrev_i32_e32 v9, 31, v8
	v_lshlrev_b64_e32 v[9:10], 2, v[8:9]
	s_delay_alu instid0(VALU_DEP_1) | instskip(SKIP_1) | instid1(VALU_DEP_2)
	v_add_co_u32 v13, vcc_lo, s4, v9
	s_wait_alu 0xfffd
	v_add_co_ci_u32_e64 v14, null, s5, v10, vcc_lo
	v_add_co_u32 v20, vcc_lo, s10, v9
	s_wait_alu 0xfffd
	v_add_co_ci_u32_e64 v21, null, s11, v10, vcc_lo
	global_load_b64 v[7:8], v[11:12], off
	global_load_b32 v13, v[13:14], off offset:4
	global_load_b32 v14, v[20:21], off
	v_add_co_u32 v9, vcc_lo, s12, v9
	s_wait_alu 0xfffd
	v_add_co_ci_u32_e64 v10, null, s13, v10, vcc_lo
.LBB27_39:                              ;   Parent Loop BB27_38 Depth=1
                                        ; =>  This Inner Loop Header: Depth=2
	global_load_b32 v20, v[9:10], off scope:SCOPE_DEV
	s_wait_loadcnt 0x0
	v_cmp_ne_u32_e32 vcc_lo, 0, v20
	s_wait_alu 0xfffe
	s_or_b32 s2, vcc_lo, s2
	s_wait_alu 0xfffe
	s_and_not1_b32 exec_lo, exec_lo, s2
	s_cbranch_execnz .LBB27_39
; %bb.40:                               ;   in Loop: Header=BB27_38 Depth=1
	s_or_b32 exec_lo, exec_lo, s2
	v_subrev_nc_u32_e32 v20, s28, v13
	v_cmp_eq_u32_e32 vcc_lo, -1, v14
	global_inv scope:SCOPE_DEV
	s_mov_b32 s23, -1
	v_add_nc_u32_e32 v9, -1, v20
	s_wait_alu 0xfffd
	s_delay_alu instid0(VALU_DEP_1) | instskip(NEXT) | instid1(VALU_DEP_1)
	v_cndmask_b32_e32 v9, v14, v9, vcc_lo
	v_ashrrev_i32_e32 v10, 31, v9
	s_delay_alu instid0(VALU_DEP_1) | instskip(NEXT) | instid1(VALU_DEP_1)
	v_lshlrev_b64_e32 v[13:14], 3, v[9:10]
	v_add_co_u32 v13, vcc_lo, s8, v13
	s_wait_alu 0xfffd
	s_delay_alu instid0(VALU_DEP_2)
	v_add_co_ci_u32_e64 v14, null, s9, v14, vcc_lo
	global_load_b64 v[13:14], v[13:14], off
	s_wait_loadcnt 0x0
	v_cmp_neq_f32_e32 vcc_lo, 0, v13
	v_cmp_neq_f32_e64 s2, 0, v14
	s_or_b32 s24, vcc_lo, s2
	s_wait_alu 0xfffe
	s_and_saveexec_b32 s2, s24
	s_cbranch_execz .LBB27_37
; %bb.41:                               ;   in Loop: Header=BB27_38 Depth=1
	v_mul_f32_e32 v10, v14, v14
	s_mov_b32 s23, exec_lo
	s_delay_alu instid0(VALU_DEP_1) | instskip(NEXT) | instid1(VALU_DEP_1)
	v_fmac_f32_e32 v10, v13, v13
	v_div_scale_f32 v21, null, v10, v10, 1.0
	v_div_scale_f32 v24, vcc_lo, 1.0, v10, 1.0
	s_delay_alu instid0(VALU_DEP_2) | instskip(NEXT) | instid1(TRANS32_DEP_1)
	v_rcp_f32_e32 v22, v21
	v_fma_f32 v23, -v21, v22, 1.0
	s_delay_alu instid0(VALU_DEP_1) | instskip(NEXT) | instid1(VALU_DEP_1)
	v_fmac_f32_e32 v22, v23, v22
	v_mul_f32_e32 v23, v24, v22
	s_delay_alu instid0(VALU_DEP_1) | instskip(NEXT) | instid1(VALU_DEP_1)
	v_fma_f32 v25, -v21, v23, v24
	v_fmac_f32_e32 v23, v25, v22
	s_delay_alu instid0(VALU_DEP_1) | instskip(SKIP_2) | instid1(VALU_DEP_2)
	v_fma_f32 v21, -v21, v23, v24
	v_mul_f32_e32 v24, v8, v14
	v_mul_f32_e64 v14, v14, -v7
	v_fmac_f32_e32 v24, v7, v13
	s_wait_alu 0xfffd
	v_div_fmas_f32 v21, v21, v22, v23
	s_delay_alu instid0(VALU_DEP_3) | instskip(SKIP_1) | instid1(VALU_DEP_3)
	v_fmac_f32_e32 v14, v8, v13
	v_add_nc_u32_e32 v7, v19, v9
	v_div_fixup_f32 v10, v21, v10, 1.0
	s_delay_alu instid0(VALU_DEP_1) | instskip(NEXT) | instid1(VALU_DEP_4)
	v_mul_f32_e32 v9, v24, v10
	v_mul_f32_e32 v10, v14, v10
	global_store_b64 v[11:12], v[9:10], off
	v_cmpx_lt_i32_e64 v7, v20
	s_cbranch_execz .LBB27_36
; %bb.42:                               ;   in Loop: Header=BB27_38 Depth=1
	s_mov_b32 s24, 0
	s_branch .LBB27_44
.LBB27_43:                              ;   in Loop: Header=BB27_44 Depth=2
	s_wait_alu 0xfffe
	s_or_b32 exec_lo, exec_lo, s25
	v_add_nc_u32_e32 v7, 32, v7
	s_delay_alu instid0(VALU_DEP_1)
	v_cmp_ge_i32_e32 vcc_lo, v7, v20
	s_or_b32 s24, vcc_lo, s24
	s_wait_alu 0xfffe
	s_and_not1_b32 exec_lo, exec_lo, s24
	s_cbranch_execz .LBB27_36
.LBB27_44:                              ;   Parent Loop BB27_38 Depth=1
                                        ; =>  This Loop Header: Depth=2
                                        ;       Child Loop BB27_53 Depth 3
	v_ashrrev_i32_e32 v8, 31, v7
	s_mov_b32 s25, 0
                                        ; implicit-def: $sgpr26
                                        ; implicit-def: $sgpr27
                                        ; implicit-def: $sgpr30
	s_delay_alu instid0(VALU_DEP_1) | instskip(NEXT) | instid1(VALU_DEP_1)
	v_lshlrev_b64_e32 v[11:12], 2, v[7:8]
	v_add_co_u32 v11, vcc_lo, s6, v11
	s_wait_alu 0xfffd
	s_delay_alu instid0(VALU_DEP_2)
	v_add_co_ci_u32_e64 v12, null, s7, v12, vcc_lo
	global_load_b32 v11, v[11:12], off
	v_mov_b32_e32 v12, 32
	s_wait_loadcnt 0x0
	v_mul_lo_u32 v14, v11, 7
	s_branch .LBB27_53
.LBB27_45:                              ;   in Loop: Header=BB27_53 Depth=3
	s_or_b32 exec_lo, exec_lo, s41
	s_delay_alu instid0(SALU_CYCLE_1)
	s_or_not1_b32 s39, s39, exec_lo
	s_or_not1_b32 s40, s40, exec_lo
.LBB27_46:                              ;   in Loop: Header=BB27_53 Depth=3
	s_or_b32 exec_lo, exec_lo, s38
	s_delay_alu instid0(SALU_CYCLE_1)
	s_and_b32 s39, s39, exec_lo
	s_or_not1_b32 s38, s40, exec_lo
.LBB27_47:                              ;   in Loop: Header=BB27_53 Depth=3
	s_or_b32 exec_lo, exec_lo, s37
	s_delay_alu instid0(SALU_CYCLE_1)
	s_or_not1_b32 s37, s39, exec_lo
	s_or_not1_b32 s38, s38, exec_lo
.LBB27_48:                              ;   in Loop: Header=BB27_53 Depth=3
	s_or_b32 exec_lo, exec_lo, s36
	s_delay_alu instid0(SALU_CYCLE_1)
	s_and_b32 s37, s37, exec_lo
	s_or_not1_b32 s36, s38, exec_lo
.LBB27_49:                              ;   in Loop: Header=BB27_53 Depth=3
	s_or_b32 exec_lo, exec_lo, s35
	s_delay_alu instid0(SALU_CYCLE_1)
	s_or_not1_b32 s35, s37, exec_lo
	s_or_not1_b32 s36, s36, exec_lo
.LBB27_50:                              ;   in Loop: Header=BB27_53 Depth=3
	s_or_b32 exec_lo, exec_lo, s34
	s_delay_alu instid0(SALU_CYCLE_1)
	s_and_b32 s35, s35, exec_lo
	s_or_not1_b32 s34, s36, exec_lo
.LBB27_51:                              ;   in Loop: Header=BB27_53 Depth=3
	s_or_b32 exec_lo, exec_lo, s33
	s_delay_alu instid0(SALU_CYCLE_1)
	s_and_not1_b32 s30, s30, exec_lo
	s_and_b32 s33, s35, exec_lo
	s_and_not1_b32 s27, s27, exec_lo
	s_and_b32 s34, s34, exec_lo
	s_or_b32 s30, s30, s33
	s_or_b32 s27, s27, s34
.LBB27_52:                              ;   in Loop: Header=BB27_53 Depth=3
	s_or_b32 exec_lo, exec_lo, s31
	s_delay_alu instid0(SALU_CYCLE_1) | instskip(SKIP_4) | instid1(SALU_CYCLE_1)
	s_and_b32 s31, exec_lo, s27
	s_wait_alu 0xfffe
	s_or_b32 s25, s31, s25
	s_and_not1_b32 s26, s26, exec_lo
	s_and_b32 s31, s30, exec_lo
	s_or_b32 s26, s26, s31
	s_wait_alu 0xfffe
	s_and_not1_b32 exec_lo, exec_lo, s25
	s_cbranch_execz .LBB27_62
.LBB27_53:                              ;   Parent Loop BB27_38 Depth=1
                                        ;     Parent Loop BB27_44 Depth=2
                                        ; =>    This Inner Loop Header: Depth=3
	s_delay_alu instid0(VALU_DEP_1) | instskip(SKIP_3) | instid1(VALU_DEP_1)
	v_and_b32_e32 v13, 31, v14
	s_or_b32 s30, s30, exec_lo
	s_or_b32 s27, s27, exec_lo
	s_mov_b32 s31, exec_lo
	v_lshl_add_u32 v21, v13, 2, v17
	ds_load_b32 v21, v21
	s_wait_dscnt 0x0
	v_cmpx_ne_u32_e32 -1, v21
	s_cbranch_execz .LBB27_52
; %bb.54:                               ;   in Loop: Header=BB27_53 Depth=3
	s_mov_b32 s34, -1
	s_mov_b32 s35, 0
	s_mov_b32 s33, exec_lo
	v_cmpx_ne_u32_e64 v21, v11
	s_cbranch_execz .LBB27_51
; %bb.55:                               ;   in Loop: Header=BB27_53 Depth=3
	v_add_nc_u32_e32 v13, 1, v14
	s_mov_b32 s36, -1
	s_mov_b32 s35, -1
	s_mov_b32 s34, exec_lo
	s_delay_alu instid0(VALU_DEP_1) | instskip(NEXT) | instid1(VALU_DEP_1)
	v_and_b32_e32 v13, 31, v13
	v_lshl_add_u32 v21, v13, 2, v17
	ds_load_b32 v21, v21
	s_wait_dscnt 0x0
	v_cmpx_ne_u32_e32 -1, v21
	s_cbranch_execz .LBB27_50
; %bb.56:                               ;   in Loop: Header=BB27_53 Depth=3
	s_mov_b32 s37, 0
	s_mov_b32 s35, exec_lo
	v_cmpx_ne_u32_e64 v21, v11
	s_cbranch_execz .LBB27_49
; %bb.57:                               ;   in Loop: Header=BB27_53 Depth=3
	v_add_nc_u32_e32 v13, 2, v14
	s_mov_b32 s38, -1
	s_mov_b32 s37, -1
	s_mov_b32 s36, exec_lo
	s_delay_alu instid0(VALU_DEP_1) | instskip(NEXT) | instid1(VALU_DEP_1)
	v_and_b32_e32 v13, 31, v13
	v_lshl_add_u32 v21, v13, 2, v17
	ds_load_b32 v21, v21
	s_wait_dscnt 0x0
	v_cmpx_ne_u32_e32 -1, v21
	s_cbranch_execz .LBB27_48
; %bb.58:                               ;   in Loop: Header=BB27_53 Depth=3
	s_mov_b32 s39, 0
	s_mov_b32 s37, exec_lo
	v_cmpx_ne_u32_e64 v21, v11
	s_cbranch_execz .LBB27_47
; %bb.59:                               ;   in Loop: Header=BB27_53 Depth=3
	v_add_nc_u32_e32 v13, 3, v14
	s_mov_b32 s40, -1
	s_mov_b32 s39, -1
	s_mov_b32 s38, exec_lo
	s_delay_alu instid0(VALU_DEP_1) | instskip(NEXT) | instid1(VALU_DEP_1)
	v_and_b32_e32 v13, 31, v13
	v_lshl_add_u32 v14, v13, 2, v17
	ds_load_b32 v21, v14
                                        ; implicit-def: $vgpr14
	s_wait_dscnt 0x0
	v_cmpx_ne_u32_e32 -1, v21
	s_cbranch_execz .LBB27_46
; %bb.60:                               ;   in Loop: Header=BB27_53 Depth=3
	s_mov_b32 s39, 0
	s_mov_b32 s41, exec_lo
                                        ; implicit-def: $vgpr14
	v_cmpx_ne_u32_e64 v21, v11
	s_cbranch_execz .LBB27_45
; %bb.61:                               ;   in Loop: Header=BB27_53 Depth=3
	v_add_nc_u32_e32 v12, -4, v12
	v_add_nc_u32_e32 v14, 1, v13
	s_mov_b32 s39, exec_lo
	s_delay_alu instid0(VALU_DEP_2)
	v_cmp_eq_u32_e32 vcc_lo, 0, v12
	s_or_not1_b32 s40, vcc_lo, exec_lo
	s_branch .LBB27_45
.LBB27_62:                              ;   in Loop: Header=BB27_44 Depth=2
	s_or_b32 exec_lo, exec_lo, s25
	s_xor_b32 s25, s26, -1
	s_wait_alu 0xfffe
	s_and_saveexec_b32 s26, s25
	s_delay_alu instid0(SALU_CYCLE_1)
	s_xor_b32 s25, exec_lo, s26
	s_cbranch_execz .LBB27_43
; %bb.63:                               ;   in Loop: Header=BB27_44 Depth=2
	v_lshl_add_u32 v11, v13, 2, v18
	v_lshlrev_b64_e32 v[13:14], 3, v[7:8]
	ds_load_b32 v11, v11
	v_add_co_u32 v13, vcc_lo, s8, v13
	s_wait_alu 0xfffd
	v_add_co_ci_u32_e64 v14, null, s9, v14, vcc_lo
	s_wait_dscnt 0x0
	v_ashrrev_i32_e32 v12, 31, v11
	s_delay_alu instid0(VALU_DEP_1) | instskip(NEXT) | instid1(VALU_DEP_1)
	v_lshlrev_b64_e32 v[11:12], 3, v[11:12]
	v_add_co_u32 v11, vcc_lo, s8, v11
	s_wait_alu 0xfffd
	s_delay_alu instid0(VALU_DEP_2)
	v_add_co_ci_u32_e64 v12, null, s9, v12, vcc_lo
	s_clause 0x1
	global_load_b64 v[13:14], v[13:14], off
	global_load_b64 v[21:22], v[11:12], off
	s_wait_loadcnt 0x0
	v_fma_f32 v21, -v9, v13, v21
	v_fma_f32 v8, -v10, v13, v22
	s_delay_alu instid0(VALU_DEP_2) | instskip(NEXT) | instid1(VALU_DEP_2)
	v_fmac_f32_e32 v21, v10, v14
	v_fma_f32 v22, -v9, v14, v8
	global_store_b64 v[11:12], v[21:22], off
	s_branch .LBB27_43
.LBB27_64:
	s_or_b32 exec_lo, exec_lo, s14
	s_delay_alu instid0(SALU_CYCLE_1)
	s_mov_b32 s4, exec_lo
	s_wait_loadcnt 0x0
	s_wait_storecnt 0x0
	global_inv scope:SCOPE_SE
	v_cmpx_lt_i32_e32 -1, v5
	s_cbranch_execz .LBB27_86
; %bb.65:
	v_mov_b32_e32 v6, 0
	s_mov_b32 s2, exec_lo
	s_delay_alu instid0(VALU_DEP_1) | instskip(NEXT) | instid1(VALU_DEP_1)
	v_lshlrev_b64_e32 v[7:8], 3, v[5:6]
	v_add_co_u32 v9, vcc_lo, s8, v7
	s_wait_alu 0xfffd
	s_delay_alu instid0(VALU_DEP_2)
	v_add_co_ci_u32_e64 v10, null, s9, v8, vcc_lo
	global_load_b64 v[7:8], v[9:10], off
	s_wait_loadcnt 0x0
	v_cmp_gt_f32_e32 vcc_lo, 0, v7
	s_wait_alu 0xfffd
	v_cndmask_b32_e64 v5, v7, -v7, vcc_lo
	v_cmp_gt_f32_e32 vcc_lo, 0, v8
	s_wait_alu 0xfffd
	v_cndmask_b32_e64 v11, v8, -v8, vcc_lo
	s_delay_alu instid0(VALU_DEP_1)
	v_cmpx_ngt_f32_e32 v5, v11
	s_wait_alu 0xfffe
	s_xor_b32 s5, exec_lo, s2
	s_cbranch_execz .LBB27_69
; %bb.66:
	s_mov_b32 s6, exec_lo
	v_cmpx_neq_f32_e32 0, v8
	s_cbranch_execz .LBB27_68
; %bb.67:
	v_div_scale_f32 v6, null, v11, v11, v5
	v_div_scale_f32 v14, vcc_lo, v5, v11, v5
	s_delay_alu instid0(VALU_DEP_2) | instskip(NEXT) | instid1(TRANS32_DEP_1)
	v_rcp_f32_e32 v12, v6
	v_fma_f32 v13, -v6, v12, 1.0
	s_delay_alu instid0(VALU_DEP_1) | instskip(NEXT) | instid1(VALU_DEP_1)
	v_fmac_f32_e32 v12, v13, v12
	v_mul_f32_e32 v13, v14, v12
	s_delay_alu instid0(VALU_DEP_1) | instskip(NEXT) | instid1(VALU_DEP_1)
	v_fma_f32 v17, -v6, v13, v14
	v_fmac_f32_e32 v13, v17, v12
	s_delay_alu instid0(VALU_DEP_1) | instskip(SKIP_1) | instid1(VALU_DEP_1)
	v_fma_f32 v6, -v6, v13, v14
	s_wait_alu 0xfffd
	v_div_fmas_f32 v6, v6, v12, v13
	s_delay_alu instid0(VALU_DEP_1) | instskip(NEXT) | instid1(VALU_DEP_1)
	v_div_fixup_f32 v5, v6, v11, v5
	v_fma_f32 v5, v5, v5, 1.0
	s_delay_alu instid0(VALU_DEP_1) | instskip(SKIP_2) | instid1(VALU_DEP_2)
	v_mul_f32_e32 v6, 0x4f800000, v5
	v_cmp_gt_f32_e32 vcc_lo, 0xf800000, v5
	s_wait_alu 0xfffd
	v_cndmask_b32_e32 v5, v5, v6, vcc_lo
	s_delay_alu instid0(VALU_DEP_1) | instskip(NEXT) | instid1(TRANS32_DEP_1)
	v_sqrt_f32_e32 v6, v5
	v_add_nc_u32_e32 v12, -1, v6
	v_add_nc_u32_e32 v13, 1, v6
	s_delay_alu instid0(VALU_DEP_2) | instskip(NEXT) | instid1(VALU_DEP_2)
	v_fma_f32 v14, -v12, v6, v5
	v_fma_f32 v17, -v13, v6, v5
	s_delay_alu instid0(VALU_DEP_2) | instskip(SKIP_1) | instid1(VALU_DEP_1)
	v_cmp_ge_f32_e64 s2, 0, v14
	s_wait_alu 0xf1ff
	v_cndmask_b32_e64 v6, v6, v12, s2
	s_delay_alu instid0(VALU_DEP_3) | instskip(SKIP_1) | instid1(VALU_DEP_1)
	v_cmp_lt_f32_e64 s2, 0, v17
	s_wait_alu 0xf1ff
	v_cndmask_b32_e64 v6, v6, v13, s2
	s_delay_alu instid0(VALU_DEP_1) | instskip(NEXT) | instid1(VALU_DEP_1)
	v_mul_f32_e32 v12, 0x37800000, v6
	v_cndmask_b32_e32 v6, v6, v12, vcc_lo
	v_cmp_class_f32_e64 vcc_lo, v5, 0x260
	s_wait_alu 0xfffd
	s_delay_alu instid0(VALU_DEP_2) | instskip(NEXT) | instid1(VALU_DEP_1)
	v_cndmask_b32_e32 v5, v6, v5, vcc_lo
	v_mul_f32_e32 v6, v11, v5
.LBB27_68:
	s_wait_alu 0xfffe
	s_or_b32 exec_lo, exec_lo, s6
                                        ; implicit-def: $vgpr5
                                        ; implicit-def: $vgpr11
.LBB27_69:
	s_wait_alu 0xfffe
	s_and_not1_saveexec_b32 s5, s5
	s_cbranch_execz .LBB27_71
; %bb.70:
	v_div_scale_f32 v6, null, v5, v5, v11
	v_div_scale_f32 v14, vcc_lo, v11, v5, v11
	s_delay_alu instid0(VALU_DEP_2) | instskip(NEXT) | instid1(TRANS32_DEP_1)
	v_rcp_f32_e32 v12, v6
	v_fma_f32 v13, -v6, v12, 1.0
	s_delay_alu instid0(VALU_DEP_1) | instskip(NEXT) | instid1(VALU_DEP_1)
	v_fmac_f32_e32 v12, v13, v12
	v_mul_f32_e32 v13, v14, v12
	s_delay_alu instid0(VALU_DEP_1) | instskip(NEXT) | instid1(VALU_DEP_1)
	v_fma_f32 v17, -v6, v13, v14
	v_fmac_f32_e32 v13, v17, v12
	s_delay_alu instid0(VALU_DEP_1) | instskip(SKIP_1) | instid1(VALU_DEP_1)
	v_fma_f32 v6, -v6, v13, v14
	s_wait_alu 0xfffd
	v_div_fmas_f32 v6, v6, v12, v13
	s_delay_alu instid0(VALU_DEP_1) | instskip(NEXT) | instid1(VALU_DEP_1)
	v_div_fixup_f32 v6, v6, v5, v11
	v_fma_f32 v6, v6, v6, 1.0
	s_delay_alu instid0(VALU_DEP_1) | instskip(SKIP_2) | instid1(VALU_DEP_2)
	v_mul_f32_e32 v11, 0x4f800000, v6
	v_cmp_gt_f32_e32 vcc_lo, 0xf800000, v6
	s_wait_alu 0xfffd
	v_cndmask_b32_e32 v6, v6, v11, vcc_lo
	s_delay_alu instid0(VALU_DEP_1) | instskip(NEXT) | instid1(TRANS32_DEP_1)
	v_sqrt_f32_e32 v11, v6
	v_add_nc_u32_e32 v12, -1, v11
	v_add_nc_u32_e32 v13, 1, v11
	s_delay_alu instid0(VALU_DEP_2) | instskip(NEXT) | instid1(VALU_DEP_2)
	v_fma_f32 v14, -v12, v11, v6
	v_fma_f32 v17, -v13, v11, v6
	s_delay_alu instid0(VALU_DEP_2) | instskip(SKIP_1) | instid1(VALU_DEP_1)
	v_cmp_ge_f32_e64 s2, 0, v14
	s_wait_alu 0xf1ff
	v_cndmask_b32_e64 v11, v11, v12, s2
	s_delay_alu instid0(VALU_DEP_3) | instskip(SKIP_1) | instid1(VALU_DEP_1)
	v_cmp_lt_f32_e64 s2, 0, v17
	s_wait_alu 0xf1ff
	v_cndmask_b32_e64 v11, v11, v13, s2
	s_delay_alu instid0(VALU_DEP_1) | instskip(NEXT) | instid1(VALU_DEP_1)
	v_mul_f32_e32 v12, 0x37800000, v11
	v_cndmask_b32_e32 v11, v11, v12, vcc_lo
	v_cmp_class_f32_e64 vcc_lo, v6, 0x260
	s_wait_alu 0xfffd
	s_delay_alu instid0(VALU_DEP_2) | instskip(NEXT) | instid1(VALU_DEP_1)
	v_cndmask_b32_e32 v6, v11, v6, vcc_lo
	v_mul_f32_e32 v6, v5, v6
.LBB27_71:
	s_wait_alu 0xfffe
	s_or_b32 exec_lo, exec_lo, s5
	s_delay_alu instid0(VALU_DEP_1)
	v_cvt_f64_f32_e32 v[5:6], v6
	v_cmp_ne_u32_e32 vcc_lo, 1, v16
	v_cmp_eq_u32_e64 s2, 0, v15
	s_mov_b32 s5, -1
	s_cbranch_vccnz .LBB27_75
; %bb.72:
	v_cvt_f64_f32_e32 v[11:12], s29
	s_cmp_eq_u64 s[20:21], 8
	s_cselect_b32 vcc_lo, -1, 0
	s_wait_alu 0xfffe
	s_delay_alu instid0(VALU_DEP_1) | instskip(NEXT) | instid1(VALU_DEP_1)
	v_dual_cndmask_b32 v3, v12, v3 :: v_dual_cndmask_b32 v2, v11, v2
	v_cmp_ge_f64_e32 vcc_lo, v[2:3], v[5:6]
	s_and_b32 s6, s2, vcc_lo
	s_wait_alu 0xfffe
	s_and_saveexec_b32 s5, s6
	s_cbranch_execz .LBB27_74
; %bb.73:
	v_dual_mov_b32 v2, s3 :: v_dual_mov_b32 v3, s22
	global_store_b64 v[9:10], v[2:3], off
	s_wait_storecnt 0x0
	global_inv scope:SCOPE_DEV
.LBB27_74:
	s_wait_alu 0xfffe
	s_or_b32 exec_lo, exec_lo, s5
	s_mov_b32 s5, 0
.LBB27_75:
	s_wait_alu 0xfffe
	s_and_not1_b32 vcc_lo, exec_lo, s5
	s_wait_alu 0xfffe
	s_cbranch_vccnz .LBB27_86
; %bb.76:
	s_load_b64 s[0:1], s[0:1], 0x48
	v_add_nc_u32_e32 v2, s28, v4
	s_wait_kmcnt 0x0
	v_cmp_ge_f64_e32 vcc_lo, s[0:1], v[5:6]
	s_and_b32 s1, s2, vcc_lo
	s_wait_alu 0xfffe
	s_and_saveexec_b32 s0, s1
	s_cbranch_execz .LBB27_81
; %bb.77:
	s_mov_b32 s3, exec_lo
	s_brev_b32 s1, -2
.LBB27_78:                              ; =>This Inner Loop Header: Depth=1
	s_wait_alu 0xfffe
	s_ctz_i32_b32 s5, s3
	s_wait_alu 0xfffe
	v_readlane_b32 s6, v2, s5
	s_lshl_b32 s5, 1, s5
	s_wait_alu 0xfffe
	s_and_not1_b32 s3, s3, s5
	s_min_i32 s1, s1, s6
	s_wait_alu 0xfffe
	s_cmp_lg_u32 s3, 0
	s_cbranch_scc1 .LBB27_78
; %bb.79:
	v_mbcnt_lo_u32_b32 v3, exec_lo, 0
	s_mov_b32 s3, exec_lo
	s_delay_alu instid0(VALU_DEP_1)
	v_cmpx_eq_u32_e32 0, v3
	s_wait_alu 0xfffe
	s_xor_b32 s3, exec_lo, s3
	s_cbranch_execz .LBB27_81
; %bb.80:
	v_dual_mov_b32 v3, 0 :: v_dual_mov_b32 v4, s1
	global_atomic_min_i32 v3, v4, s[18:19] scope:SCOPE_DEV
.LBB27_81:
	s_wait_alu 0xfffe
	s_or_b32 exec_lo, exec_lo, s0
	v_cmp_eq_f32_e32 vcc_lo, 0, v7
	v_cmp_eq_f32_e64 s0, 0, v8
	s_and_b32 s0, vcc_lo, s0
	s_wait_alu 0xfffe
	s_and_b32 s0, s2, s0
	s_wait_alu 0xfffe
	s_and_b32 exec_lo, exec_lo, s0
	s_cbranch_execz .LBB27_86
; %bb.82:
	s_mov_b32 s1, exec_lo
	s_brev_b32 s0, -2
.LBB27_83:                              ; =>This Inner Loop Header: Depth=1
	s_wait_alu 0xfffe
	s_ctz_i32_b32 s2, s1
	s_wait_alu 0xfffe
	v_readlane_b32 s3, v2, s2
	s_lshl_b32 s2, 1, s2
	s_wait_alu 0xfffe
	s_and_not1_b32 s1, s1, s2
	s_min_i32 s0, s0, s3
	s_wait_alu 0xfffe
	s_cmp_lg_u32 s1, 0
	s_cbranch_scc1 .LBB27_83
; %bb.84:
	v_mbcnt_lo_u32_b32 v2, exec_lo, 0
	s_mov_b32 s1, exec_lo
	s_delay_alu instid0(VALU_DEP_1)
	v_cmpx_eq_u32_e32 0, v2
	s_wait_alu 0xfffe
	s_xor_b32 s1, exec_lo, s1
	s_cbranch_execz .LBB27_86
; %bb.85:
	v_dual_mov_b32 v2, 0 :: v_dual_mov_b32 v3, s0
	global_atomic_min_i32 v2, v3, s[16:17] scope:SCOPE_DEV
.LBB27_86:
	s_wait_alu 0xfffe
	s_or_b32 exec_lo, exec_lo, s4
	v_cmp_eq_u32_e32 vcc_lo, 0, v15
	s_wait_loadcnt 0x0
	s_wait_storecnt 0x0
	global_inv scope:SCOPE_DEV
	s_and_b32 exec_lo, exec_lo, vcc_lo
	s_cbranch_execz .LBB27_88
; %bb.87:
	v_add_co_u32 v0, vcc_lo, s12, v0
	s_wait_alu 0xfffd
	v_add_co_ci_u32_e64 v1, null, s13, v1, vcc_lo
	v_mov_b32_e32 v2, 1
	s_wait_loadcnt 0x0
	global_store_b32 v[0:1], v2, off scope:SCOPE_DEV
.LBB27_88:
	s_endpgm
	.section	.rodata,"a",@progbits
	.p2align	6, 0x0
	.amdhsa_kernel _ZN9rocsparseL12csrilu0_hashILj256ELj32ELj1E21rocsparse_complex_numIfEEEviPKiS4_PT2_S4_PiS4_S7_S7_d21rocsparse_index_base_imNS_24const_host_device_scalarIfEENS9_IdEENS9_IS5_EEb
		.amdhsa_group_segment_fixed_size 2048
		.amdhsa_private_segment_fixed_size 0
		.amdhsa_kernarg_size 124
		.amdhsa_user_sgpr_count 2
		.amdhsa_user_sgpr_dispatch_ptr 0
		.amdhsa_user_sgpr_queue_ptr 0
		.amdhsa_user_sgpr_kernarg_segment_ptr 1
		.amdhsa_user_sgpr_dispatch_id 0
		.amdhsa_user_sgpr_private_segment_size 0
		.amdhsa_wavefront_size32 1
		.amdhsa_uses_dynamic_stack 0
		.amdhsa_enable_private_segment 0
		.amdhsa_system_sgpr_workgroup_id_x 1
		.amdhsa_system_sgpr_workgroup_id_y 0
		.amdhsa_system_sgpr_workgroup_id_z 0
		.amdhsa_system_sgpr_workgroup_info 0
		.amdhsa_system_vgpr_workitem_id 0
		.amdhsa_next_free_vgpr 26
		.amdhsa_next_free_sgpr 42
		.amdhsa_reserve_vcc 1
		.amdhsa_float_round_mode_32 0
		.amdhsa_float_round_mode_16_64 0
		.amdhsa_float_denorm_mode_32 3
		.amdhsa_float_denorm_mode_16_64 3
		.amdhsa_fp16_overflow 0
		.amdhsa_workgroup_processor_mode 1
		.amdhsa_memory_ordered 1
		.amdhsa_forward_progress 1
		.amdhsa_inst_pref_size 30
		.amdhsa_round_robin_scheduling 0
		.amdhsa_exception_fp_ieee_invalid_op 0
		.amdhsa_exception_fp_denorm_src 0
		.amdhsa_exception_fp_ieee_div_zero 0
		.amdhsa_exception_fp_ieee_overflow 0
		.amdhsa_exception_fp_ieee_underflow 0
		.amdhsa_exception_fp_ieee_inexact 0
		.amdhsa_exception_int_div_zero 0
	.end_amdhsa_kernel
	.section	.text._ZN9rocsparseL12csrilu0_hashILj256ELj32ELj1E21rocsparse_complex_numIfEEEviPKiS4_PT2_S4_PiS4_S7_S7_d21rocsparse_index_base_imNS_24const_host_device_scalarIfEENS9_IdEENS9_IS5_EEb,"axG",@progbits,_ZN9rocsparseL12csrilu0_hashILj256ELj32ELj1E21rocsparse_complex_numIfEEEviPKiS4_PT2_S4_PiS4_S7_S7_d21rocsparse_index_base_imNS_24const_host_device_scalarIfEENS9_IdEENS9_IS5_EEb,comdat
.Lfunc_end27:
	.size	_ZN9rocsparseL12csrilu0_hashILj256ELj32ELj1E21rocsparse_complex_numIfEEEviPKiS4_PT2_S4_PiS4_S7_S7_d21rocsparse_index_base_imNS_24const_host_device_scalarIfEENS9_IdEENS9_IS5_EEb, .Lfunc_end27-_ZN9rocsparseL12csrilu0_hashILj256ELj32ELj1E21rocsparse_complex_numIfEEEviPKiS4_PT2_S4_PiS4_S7_S7_d21rocsparse_index_base_imNS_24const_host_device_scalarIfEENS9_IdEENS9_IS5_EEb
                                        ; -- End function
	.set _ZN9rocsparseL12csrilu0_hashILj256ELj32ELj1E21rocsparse_complex_numIfEEEviPKiS4_PT2_S4_PiS4_S7_S7_d21rocsparse_index_base_imNS_24const_host_device_scalarIfEENS9_IdEENS9_IS5_EEb.num_vgpr, 26
	.set _ZN9rocsparseL12csrilu0_hashILj256ELj32ELj1E21rocsparse_complex_numIfEEEviPKiS4_PT2_S4_PiS4_S7_S7_d21rocsparse_index_base_imNS_24const_host_device_scalarIfEENS9_IdEENS9_IS5_EEb.num_agpr, 0
	.set _ZN9rocsparseL12csrilu0_hashILj256ELj32ELj1E21rocsparse_complex_numIfEEEviPKiS4_PT2_S4_PiS4_S7_S7_d21rocsparse_index_base_imNS_24const_host_device_scalarIfEENS9_IdEENS9_IS5_EEb.numbered_sgpr, 42
	.set _ZN9rocsparseL12csrilu0_hashILj256ELj32ELj1E21rocsparse_complex_numIfEEEviPKiS4_PT2_S4_PiS4_S7_S7_d21rocsparse_index_base_imNS_24const_host_device_scalarIfEENS9_IdEENS9_IS5_EEb.num_named_barrier, 0
	.set _ZN9rocsparseL12csrilu0_hashILj256ELj32ELj1E21rocsparse_complex_numIfEEEviPKiS4_PT2_S4_PiS4_S7_S7_d21rocsparse_index_base_imNS_24const_host_device_scalarIfEENS9_IdEENS9_IS5_EEb.private_seg_size, 0
	.set _ZN9rocsparseL12csrilu0_hashILj256ELj32ELj1E21rocsparse_complex_numIfEEEviPKiS4_PT2_S4_PiS4_S7_S7_d21rocsparse_index_base_imNS_24const_host_device_scalarIfEENS9_IdEENS9_IS5_EEb.uses_vcc, 1
	.set _ZN9rocsparseL12csrilu0_hashILj256ELj32ELj1E21rocsparse_complex_numIfEEEviPKiS4_PT2_S4_PiS4_S7_S7_d21rocsparse_index_base_imNS_24const_host_device_scalarIfEENS9_IdEENS9_IS5_EEb.uses_flat_scratch, 0
	.set _ZN9rocsparseL12csrilu0_hashILj256ELj32ELj1E21rocsparse_complex_numIfEEEviPKiS4_PT2_S4_PiS4_S7_S7_d21rocsparse_index_base_imNS_24const_host_device_scalarIfEENS9_IdEENS9_IS5_EEb.has_dyn_sized_stack, 0
	.set _ZN9rocsparseL12csrilu0_hashILj256ELj32ELj1E21rocsparse_complex_numIfEEEviPKiS4_PT2_S4_PiS4_S7_S7_d21rocsparse_index_base_imNS_24const_host_device_scalarIfEENS9_IdEENS9_IS5_EEb.has_recursion, 0
	.set _ZN9rocsparseL12csrilu0_hashILj256ELj32ELj1E21rocsparse_complex_numIfEEEviPKiS4_PT2_S4_PiS4_S7_S7_d21rocsparse_index_base_imNS_24const_host_device_scalarIfEENS9_IdEENS9_IS5_EEb.has_indirect_call, 0
	.section	.AMDGPU.csdata,"",@progbits
; Kernel info:
; codeLenInByte = 3840
; TotalNumSgprs: 44
; NumVgprs: 26
; ScratchSize: 0
; MemoryBound: 0
; FloatMode: 240
; IeeeMode: 1
; LDSByteSize: 2048 bytes/workgroup (compile time only)
; SGPRBlocks: 0
; VGPRBlocks: 3
; NumSGPRsForWavesPerEU: 44
; NumVGPRsForWavesPerEU: 26
; Occupancy: 16
; WaveLimiterHint : 1
; COMPUTE_PGM_RSRC2:SCRATCH_EN: 0
; COMPUTE_PGM_RSRC2:USER_SGPR: 2
; COMPUTE_PGM_RSRC2:TRAP_HANDLER: 0
; COMPUTE_PGM_RSRC2:TGID_X_EN: 1
; COMPUTE_PGM_RSRC2:TGID_Y_EN: 0
; COMPUTE_PGM_RSRC2:TGID_Z_EN: 0
; COMPUTE_PGM_RSRC2:TIDIG_COMP_CNT: 0
	.section	.text._ZN9rocsparseL12csrilu0_hashILj256ELj32ELj2E21rocsparse_complex_numIfEEEviPKiS4_PT2_S4_PiS4_S7_S7_d21rocsparse_index_base_imNS_24const_host_device_scalarIfEENS9_IdEENS9_IS5_EEb,"axG",@progbits,_ZN9rocsparseL12csrilu0_hashILj256ELj32ELj2E21rocsparse_complex_numIfEEEviPKiS4_PT2_S4_PiS4_S7_S7_d21rocsparse_index_base_imNS_24const_host_device_scalarIfEENS9_IdEENS9_IS5_EEb,comdat
	.globl	_ZN9rocsparseL12csrilu0_hashILj256ELj32ELj2E21rocsparse_complex_numIfEEEviPKiS4_PT2_S4_PiS4_S7_S7_d21rocsparse_index_base_imNS_24const_host_device_scalarIfEENS9_IdEENS9_IS5_EEb ; -- Begin function _ZN9rocsparseL12csrilu0_hashILj256ELj32ELj2E21rocsparse_complex_numIfEEEviPKiS4_PT2_S4_PiS4_S7_S7_d21rocsparse_index_base_imNS_24const_host_device_scalarIfEENS9_IdEENS9_IS5_EEb
	.p2align	8
	.type	_ZN9rocsparseL12csrilu0_hashILj256ELj32ELj2E21rocsparse_complex_numIfEEEviPKiS4_PT2_S4_PiS4_S7_S7_d21rocsparse_index_base_imNS_24const_host_device_scalarIfEENS9_IdEENS9_IS5_EEb,@function
_ZN9rocsparseL12csrilu0_hashILj256ELj32ELj2E21rocsparse_complex_numIfEEEviPKiS4_PT2_S4_PiS4_S7_S7_d21rocsparse_index_base_imNS_24const_host_device_scalarIfEENS9_IdEENS9_IS5_EEb: ; @_ZN9rocsparseL12csrilu0_hashILj256ELj32ELj2E21rocsparse_complex_numIfEEEviPKiS4_PT2_S4_PiS4_S7_S7_d21rocsparse_index_base_imNS_24const_host_device_scalarIfEENS9_IdEENS9_IS5_EEb
; %bb.0:
	s_clause 0x2
	s_load_b32 s2, s[0:1], 0x78
	s_load_b64 s[28:29], s[0:1], 0x50
	s_load_b256 s[20:27], s[0:1], 0x58
	s_wait_kmcnt 0x0
	s_bitcmp1_b32 s2, 0
	s_cselect_b32 s4, -1, 0
	s_cmp_eq_u32 s29, 0
	s_cselect_b32 s2, -1, 0
	s_cmp_lg_u32 s29, 0
	s_cselect_b32 s5, -1, 0
	s_or_b32 s7, s2, s4
	s_delay_alu instid0(SALU_CYCLE_1)
	s_xor_b32 s6, s7, -1
	s_and_b32 s2, s2, exec_lo
	s_cselect_b32 s3, 0, s25
	s_cselect_b32 s2, 0, s24
	;; [unrolled: 1-line block ×3, first 2 shown]
	s_and_b32 vcc_lo, exec_lo, s7
	s_cbranch_vccnz .LBB28_2
; %bb.1:
	s_load_b32 s29, s[22:23], 0x0
	s_mov_b64 s[2:3], s[24:25]
.LBB28_2:
	s_delay_alu instid0(SALU_CYCLE_1)
	v_dual_mov_b32 v4, s3 :: v_dual_mov_b32 v3, s2
	s_and_not1_b32 vcc_lo, exec_lo, s6
	s_cbranch_vccnz .LBB28_4
; %bb.3:
	v_dual_mov_b32 v1, s24 :: v_dual_mov_b32 v2, s25
	flat_load_b64 v[3:4], v[1:2]
.LBB28_4:
	v_cndmask_b32_e64 v17, 0, 1, s5
	s_mov_b32 s3, 0
	s_and_not1_b32 vcc_lo, exec_lo, s5
	s_mov_b32 s22, 0
	s_cbranch_vccnz .LBB28_10
; %bb.5:
	s_xor_b32 s2, s4, -1
	s_mov_b32 s3, s26
	s_wait_alu 0xfffe
	v_cndmask_b32_e64 v1, 0, 1, s2
	s_and_not1_b32 vcc_lo, exec_lo, s2
	s_cbranch_vccnz .LBB28_7
; %bb.6:
	s_load_b32 s3, s[26:27], 0x0
.LBB28_7:
	s_delay_alu instid0(VALU_DEP_1)
	v_cmp_ne_u32_e32 vcc_lo, 1, v1
	s_cbranch_vccnz .LBB28_9
; %bb.8:
	s_load_b32 s27, s[26:27], 0x4
.LBB28_9:
	s_wait_kmcnt 0x0
	s_mov_b32 s22, s27
.LBB28_10:
	v_lshrrev_b32_e32 v1, 5, v0
	v_and_b32_e32 v16, 31, v0
	s_mov_b32 s2, 0
	s_delay_alu instid0(VALU_DEP_2) | instskip(NEXT) | instid1(VALU_DEP_2)
	v_lshlrev_b32_e32 v5, 8, v1
	v_lshlrev_b32_e32 v6, 2, v16
	v_or_b32_e32 v2, 0xffffffe0, v16
	s_delay_alu instid0(VALU_DEP_2)
	v_or3_b32 v5, v5, v6, 0x800
	v_mov_b32_e32 v6, -1
.LBB28_11:                              ; =>This Inner Loop Header: Depth=1
	s_delay_alu instid0(VALU_DEP_3)
	v_add_co_u32 v2, s4, v2, 32
	s_xor_b32 s4, s4, -1
	ds_store_b32 v5, v6
	v_add_nc_u32_e32 v5, 0x80, v5
	s_wait_alu 0xfffe
	s_and_b32 s4, exec_lo, s4
	s_wait_alu 0xfffe
	s_or_b32 s2, s4, s2
	s_wait_alu 0xfffe
	s_and_not1_b32 exec_lo, exec_lo, s2
	s_cbranch_execnz .LBB28_11
; %bb.12:
	s_or_b32 exec_lo, exec_lo, s2
	s_load_b32 s2, s[0:1], 0x0
	s_lshl_b32 s4, ttmp9, 3
	s_wait_loadcnt_dscnt 0x0
	global_inv scope:SCOPE_SE
	s_wait_alu 0xfffe
	v_and_or_b32 v1, 0x7fffff8, s4, v1
	s_wait_kmcnt 0x0
	s_delay_alu instid0(VALU_DEP_1)
	v_cmp_gt_i32_e32 vcc_lo, s2, v1
	s_and_saveexec_b32 s2, vcc_lo
	s_cbranch_execz .LBB28_90
; %bb.13:
	s_load_b512 s[4:19], s[0:1], 0x8
	v_lshlrev_b32_e32 v1, 2, v1
	v_lshlrev_b32_e32 v0, 3, v0
	s_mov_b32 s2, exec_lo
	s_delay_alu instid0(VALU_DEP_1) | instskip(NEXT) | instid1(VALU_DEP_1)
	v_and_b32_e32 v0, 0x700, v0
	v_or_b32_e32 v18, 0x800, v0
	s_wait_kmcnt 0x0
	global_load_b32 v5, v1, s[14:15]
	s_wait_loadcnt 0x0
	v_ashrrev_i32_e32 v6, 31, v5
	s_delay_alu instid0(VALU_DEP_1) | instskip(NEXT) | instid1(VALU_DEP_1)
	v_lshlrev_b64_e32 v[1:2], 2, v[5:6]
	v_add_co_u32 v6, vcc_lo, s4, v1
	s_delay_alu instid0(VALU_DEP_1)
	v_add_co_ci_u32_e64 v7, null, s5, v2, vcc_lo
	v_add_co_u32 v9, vcc_lo, s10, v1
	s_wait_alu 0xfffd
	v_add_co_ci_u32_e64 v10, null, s11, v2, vcc_lo
	global_load_b64 v[7:8], v[6:7], off
	global_load_b32 v6, v[9:10], off
	s_wait_loadcnt 0x1
	v_subrev_nc_u32_e32 v7, s28, v7
	v_subrev_nc_u32_e32 v10, s28, v8
	s_delay_alu instid0(VALU_DEP_2) | instskip(NEXT) | instid1(VALU_DEP_1)
	v_add_nc_u32_e32 v8, v7, v16
	v_cmpx_lt_i32_e64 v8, v10
	s_cbranch_execz .LBB28_36
; %bb.14:
	v_mov_b32_e32 v11, -1
	s_mov_b32 s14, 0
	s_branch .LBB28_16
.LBB28_15:                              ;   in Loop: Header=BB28_16 Depth=1
	s_or_b32 exec_lo, exec_lo, s15
	v_add_nc_u32_e32 v8, 32, v8
	s_delay_alu instid0(VALU_DEP_1) | instskip(SKIP_1) | instid1(SALU_CYCLE_1)
	v_cmp_ge_i32_e32 vcc_lo, v8, v10
	s_or_b32 s14, vcc_lo, s14
	s_and_not1_b32 exec_lo, exec_lo, s14
	s_cbranch_execz .LBB28_36
.LBB28_16:                              ; =>This Loop Header: Depth=1
                                        ;     Child Loop BB28_25 Depth 2
	v_ashrrev_i32_e32 v9, 31, v8
	s_mov_b32 s15, 0
                                        ; implicit-def: $sgpr23
                                        ; implicit-def: $sgpr24
                                        ; implicit-def: $sgpr25
	s_delay_alu instid0(VALU_DEP_1) | instskip(NEXT) | instid1(VALU_DEP_1)
	v_lshlrev_b64_e32 v[12:13], 2, v[8:9]
	v_add_co_u32 v12, vcc_lo, s6, v12
	s_wait_alu 0xfffd
	s_delay_alu instid0(VALU_DEP_2)
	v_add_co_ci_u32_e64 v13, null, s7, v13, vcc_lo
	global_load_b32 v9, v[12:13], off
	v_mov_b32_e32 v12, 64
	s_wait_loadcnt 0x0
	v_mul_lo_u32 v14, v9, 39
	s_branch .LBB28_25
.LBB28_17:                              ;   in Loop: Header=BB28_25 Depth=2
	s_or_b32 exec_lo, exec_lo, s38
	s_delay_alu instid0(SALU_CYCLE_1)
	s_or_not1_b32 s36, s36, exec_lo
	s_or_not1_b32 s37, s37, exec_lo
.LBB28_18:                              ;   in Loop: Header=BB28_25 Depth=2
	s_or_b32 exec_lo, exec_lo, s35
	s_delay_alu instid0(SALU_CYCLE_1)
	s_and_b32 s36, s36, exec_lo
	s_or_not1_b32 s35, s37, exec_lo
.LBB28_19:                              ;   in Loop: Header=BB28_25 Depth=2
	s_or_b32 exec_lo, exec_lo, s34
	s_delay_alu instid0(SALU_CYCLE_1)
	s_or_not1_b32 s34, s36, exec_lo
	s_or_not1_b32 s35, s35, exec_lo
.LBB28_20:                              ;   in Loop: Header=BB28_25 Depth=2
	s_or_b32 exec_lo, exec_lo, s33
	s_delay_alu instid0(SALU_CYCLE_1)
	s_and_b32 s34, s34, exec_lo
	s_or_not1_b32 s33, s35, exec_lo
.LBB28_21:                              ;   in Loop: Header=BB28_25 Depth=2
	s_or_b32 exec_lo, exec_lo, s31
	s_delay_alu instid0(SALU_CYCLE_1)
	s_or_not1_b32 s31, s34, exec_lo
	s_or_not1_b32 s33, s33, exec_lo
.LBB28_22:                              ;   in Loop: Header=BB28_25 Depth=2
	s_or_b32 exec_lo, exec_lo, s30
	s_delay_alu instid0(SALU_CYCLE_1)
	s_and_b32 s31, s31, exec_lo
	s_or_not1_b32 s30, s33, exec_lo
.LBB28_23:                              ;   in Loop: Header=BB28_25 Depth=2
	s_or_b32 exec_lo, exec_lo, s27
	s_wait_alu 0xfffe
	s_and_not1_b32 s25, s25, exec_lo
	s_and_b32 s27, s31, exec_lo
	s_and_not1_b32 s24, s24, exec_lo
	s_and_b32 s30, s30, exec_lo
	s_wait_alu 0xfffe
	s_or_b32 s25, s25, s27
	s_or_b32 s24, s24, s30
.LBB28_24:                              ;   in Loop: Header=BB28_25 Depth=2
	s_or_b32 exec_lo, exec_lo, s26
	s_wait_alu 0xfffe
	s_and_b32 s26, exec_lo, s24
	s_delay_alu instid0(SALU_CYCLE_1) | instskip(SKIP_2) | instid1(SALU_CYCLE_1)
	s_or_b32 s15, s26, s15
	s_and_not1_b32 s23, s23, exec_lo
	s_and_b32 s26, s25, exec_lo
	s_or_b32 s23, s23, s26
	s_and_not1_b32 exec_lo, exec_lo, s15
	s_cbranch_execz .LBB28_34
.LBB28_25:                              ;   Parent Loop BB28_16 Depth=1
                                        ; =>  This Inner Loop Header: Depth=2
	s_delay_alu instid0(VALU_DEP_1) | instskip(SKIP_3) | instid1(VALU_DEP_1)
	v_and_b32_e32 v13, 63, v14
	s_or_b32 s25, s25, exec_lo
	s_or_b32 s24, s24, exec_lo
	s_mov_b32 s26, exec_lo
	v_lshl_add_u32 v15, v13, 2, v18
	ds_load_b32 v19, v15
	s_wait_dscnt 0x0
	v_cmpx_ne_u32_e64 v19, v9
	s_cbranch_execz .LBB28_24
; %bb.26:                               ;   in Loop: Header=BB28_25 Depth=2
	ds_cmpstore_rtn_b32 v15, v15, v9, v11
	s_mov_b32 s30, -1
	s_mov_b32 s31, 0
	s_mov_b32 s27, exec_lo
	s_wait_dscnt 0x0
	v_cmpx_ne_u32_e32 -1, v15
	s_cbranch_execz .LBB28_23
; %bb.27:                               ;   in Loop: Header=BB28_25 Depth=2
	v_add_nc_u32_e32 v13, 1, v14
	s_mov_b32 s33, -1
	s_mov_b32 s31, -1
	s_mov_b32 s30, exec_lo
	s_delay_alu instid0(VALU_DEP_1) | instskip(NEXT) | instid1(VALU_DEP_1)
	v_and_b32_e32 v13, 63, v13
	v_lshl_add_u32 v15, v13, 2, v18
	ds_load_b32 v19, v15
	s_wait_dscnt 0x0
	v_cmpx_ne_u32_e64 v19, v9
	s_cbranch_execz .LBB28_22
; %bb.28:                               ;   in Loop: Header=BB28_25 Depth=2
	ds_cmpstore_rtn_b32 v15, v15, v9, v11
	s_mov_b32 s34, 0
	s_mov_b32 s31, exec_lo
	s_wait_dscnt 0x0
	v_cmpx_ne_u32_e32 -1, v15
	s_cbranch_execz .LBB28_21
; %bb.29:                               ;   in Loop: Header=BB28_25 Depth=2
	v_add_nc_u32_e32 v13, 2, v14
	s_mov_b32 s35, -1
	s_mov_b32 s34, -1
	s_mov_b32 s33, exec_lo
	s_delay_alu instid0(VALU_DEP_1) | instskip(NEXT) | instid1(VALU_DEP_1)
	v_and_b32_e32 v13, 63, v13
	v_lshl_add_u32 v15, v13, 2, v18
	ds_load_b32 v19, v15
	s_wait_dscnt 0x0
	v_cmpx_ne_u32_e64 v19, v9
	s_cbranch_execz .LBB28_20
; %bb.30:                               ;   in Loop: Header=BB28_25 Depth=2
	ds_cmpstore_rtn_b32 v15, v15, v9, v11
	s_mov_b32 s36, 0
	s_mov_b32 s34, exec_lo
	s_wait_dscnt 0x0
	v_cmpx_ne_u32_e32 -1, v15
	s_cbranch_execz .LBB28_19
; %bb.31:                               ;   in Loop: Header=BB28_25 Depth=2
	v_add_nc_u32_e32 v13, 3, v14
	s_mov_b32 s37, -1
	s_mov_b32 s36, -1
	s_delay_alu instid0(VALU_DEP_1) | instskip(NEXT) | instid1(VALU_DEP_1)
	v_and_b32_e32 v13, 63, v13
	v_lshl_add_u32 v15, v13, 2, v18
	ds_load_b32 v14, v15
	s_wait_dscnt 0x0
	v_cmp_ne_u32_e32 vcc_lo, v14, v9
                                        ; implicit-def: $vgpr14
	s_and_saveexec_b32 s35, vcc_lo
	s_cbranch_execz .LBB28_18
; %bb.32:                               ;   in Loop: Header=BB28_25 Depth=2
	ds_cmpstore_rtn_b32 v14, v15, v9, v11
	s_mov_b32 s36, 0
	s_wait_dscnt 0x0
	v_cmp_ne_u32_e32 vcc_lo, -1, v14
                                        ; implicit-def: $vgpr14
	s_and_saveexec_b32 s38, vcc_lo
	s_cbranch_execz .LBB28_17
; %bb.33:                               ;   in Loop: Header=BB28_25 Depth=2
	v_add_nc_u32_e32 v12, -4, v12
	v_add_nc_u32_e32 v14, 1, v13
	s_mov_b32 s36, exec_lo
	s_delay_alu instid0(VALU_DEP_2)
	v_cmp_eq_u32_e32 vcc_lo, 0, v12
	s_or_not1_b32 s37, vcc_lo, exec_lo
	s_branch .LBB28_17
.LBB28_34:                              ;   in Loop: Header=BB28_16 Depth=1
	s_or_b32 exec_lo, exec_lo, s15
	s_xor_b32 s15, s23, -1
	s_delay_alu instid0(SALU_CYCLE_1) | instskip(NEXT) | instid1(SALU_CYCLE_1)
	s_and_saveexec_b32 s23, s15
	s_xor_b32 s15, exec_lo, s23
	s_cbranch_execz .LBB28_15
; %bb.35:                               ;   in Loop: Header=BB28_16 Depth=1
	v_lshl_add_u32 v9, v13, 2, v0
	ds_store_b32 v9, v8
	s_branch .LBB28_15
.LBB28_36:
	s_wait_alu 0xfffe
	s_or_b32 exec_lo, exec_lo, s2
	s_delay_alu instid0(SALU_CYCLE_1)
	s_mov_b32 s14, exec_lo
	s_wait_loadcnt_dscnt 0x0
	global_inv scope:SCOPE_SE
	v_cmpx_lt_i32_e64 v7, v6
	s_cbranch_execz .LBB28_66
; %bb.37:
	v_add_nc_u32_e32 v19, 1, v16
	s_mov_b32 s15, 0
	s_branch .LBB28_40
.LBB28_38:                              ;   in Loop: Header=BB28_40 Depth=1
	s_or_b32 exec_lo, exec_lo, s23
	v_add_nc_u32_e32 v7, 1, v7
	s_delay_alu instid0(VALU_DEP_1)
	v_cmp_ge_i32_e32 vcc_lo, v7, v6
	s_or_not1_b32 s23, vcc_lo, exec_lo
.LBB28_39:                              ;   in Loop: Header=BB28_40 Depth=1
	s_wait_alu 0xfffe
	s_or_b32 exec_lo, exec_lo, s2
	s_delay_alu instid0(SALU_CYCLE_1) | instskip(SKIP_2) | instid1(SALU_CYCLE_1)
	s_and_b32 s2, exec_lo, s23
	s_wait_alu 0xfffe
	s_or_b32 s15, s2, s15
	s_and_not1_b32 exec_lo, exec_lo, s15
	s_cbranch_execz .LBB28_66
.LBB28_40:                              ; =>This Loop Header: Depth=1
                                        ;     Child Loop BB28_41 Depth 2
                                        ;     Child Loop BB28_46 Depth 2
                                        ;       Child Loop BB28_55 Depth 3
	v_ashrrev_i32_e32 v8, 31, v7
	s_mov_b32 s2, 0
	s_delay_alu instid0(VALU_DEP_1) | instskip(SKIP_1) | instid1(VALU_DEP_2)
	v_lshlrev_b64_e32 v[9:10], 2, v[7:8]
	v_lshlrev_b64_e32 v[12:13], 3, v[7:8]
	v_add_co_u32 v9, vcc_lo, s6, v9
	s_wait_alu 0xfffd
	s_delay_alu instid0(VALU_DEP_3) | instskip(NEXT) | instid1(VALU_DEP_3)
	v_add_co_ci_u32_e64 v10, null, s7, v10, vcc_lo
	v_add_co_u32 v12, vcc_lo, s8, v12
	s_wait_alu 0xfffd
	v_add_co_ci_u32_e64 v13, null, s9, v13, vcc_lo
	global_load_b32 v9, v[9:10], off
	s_wait_loadcnt 0x0
	v_subrev_nc_u32_e32 v9, s28, v9
	s_delay_alu instid0(VALU_DEP_1) | instskip(NEXT) | instid1(VALU_DEP_1)
	v_ashrrev_i32_e32 v10, 31, v9
	v_lshlrev_b64_e32 v[10:11], 2, v[9:10]
	s_delay_alu instid0(VALU_DEP_1) | instskip(SKIP_1) | instid1(VALU_DEP_2)
	v_add_co_u32 v14, vcc_lo, s4, v10
	s_wait_alu 0xfffd
	v_add_co_ci_u32_e64 v15, null, s5, v11, vcc_lo
	v_add_co_u32 v20, vcc_lo, s10, v10
	s_wait_alu 0xfffd
	v_add_co_ci_u32_e64 v21, null, s11, v11, vcc_lo
	global_load_b64 v[8:9], v[12:13], off
	global_load_b32 v14, v[14:15], off offset:4
	global_load_b32 v15, v[20:21], off
	v_add_co_u32 v10, vcc_lo, s12, v10
	s_wait_alu 0xfffd
	v_add_co_ci_u32_e64 v11, null, s13, v11, vcc_lo
.LBB28_41:                              ;   Parent Loop BB28_40 Depth=1
                                        ; =>  This Inner Loop Header: Depth=2
	global_load_b32 v20, v[10:11], off scope:SCOPE_DEV
	s_wait_loadcnt 0x0
	v_cmp_ne_u32_e32 vcc_lo, 0, v20
	s_wait_alu 0xfffe
	s_or_b32 s2, vcc_lo, s2
	s_wait_alu 0xfffe
	s_and_not1_b32 exec_lo, exec_lo, s2
	s_cbranch_execnz .LBB28_41
; %bb.42:                               ;   in Loop: Header=BB28_40 Depth=1
	s_or_b32 exec_lo, exec_lo, s2
	v_subrev_nc_u32_e32 v20, s28, v14
	v_cmp_eq_u32_e32 vcc_lo, -1, v15
	global_inv scope:SCOPE_DEV
	s_mov_b32 s23, -1
	v_add_nc_u32_e32 v10, -1, v20
	s_wait_alu 0xfffd
	s_delay_alu instid0(VALU_DEP_1) | instskip(NEXT) | instid1(VALU_DEP_1)
	v_cndmask_b32_e32 v10, v15, v10, vcc_lo
	v_ashrrev_i32_e32 v11, 31, v10
	s_delay_alu instid0(VALU_DEP_1) | instskip(NEXT) | instid1(VALU_DEP_1)
	v_lshlrev_b64_e32 v[14:15], 3, v[10:11]
	v_add_co_u32 v14, vcc_lo, s8, v14
	s_wait_alu 0xfffd
	s_delay_alu instid0(VALU_DEP_2)
	v_add_co_ci_u32_e64 v15, null, s9, v15, vcc_lo
	global_load_b64 v[14:15], v[14:15], off
	s_wait_loadcnt 0x0
	v_cmp_neq_f32_e32 vcc_lo, 0, v14
	v_cmp_neq_f32_e64 s2, 0, v15
	s_or_b32 s24, vcc_lo, s2
	s_wait_alu 0xfffe
	s_and_saveexec_b32 s2, s24
	s_cbranch_execz .LBB28_39
; %bb.43:                               ;   in Loop: Header=BB28_40 Depth=1
	v_mul_f32_e32 v11, v15, v15
	s_mov_b32 s23, exec_lo
	s_delay_alu instid0(VALU_DEP_1) | instskip(NEXT) | instid1(VALU_DEP_1)
	v_fmac_f32_e32 v11, v14, v14
	v_div_scale_f32 v21, null, v11, v11, 1.0
	v_div_scale_f32 v24, vcc_lo, 1.0, v11, 1.0
	s_delay_alu instid0(VALU_DEP_2) | instskip(NEXT) | instid1(TRANS32_DEP_1)
	v_rcp_f32_e32 v22, v21
	v_fma_f32 v23, -v21, v22, 1.0
	s_delay_alu instid0(VALU_DEP_1) | instskip(NEXT) | instid1(VALU_DEP_1)
	v_fmac_f32_e32 v22, v23, v22
	v_mul_f32_e32 v23, v24, v22
	s_delay_alu instid0(VALU_DEP_1) | instskip(NEXT) | instid1(VALU_DEP_1)
	v_fma_f32 v25, -v21, v23, v24
	v_fmac_f32_e32 v23, v25, v22
	s_delay_alu instid0(VALU_DEP_1) | instskip(SKIP_3) | instid1(VALU_DEP_3)
	v_fma_f32 v21, -v21, v23, v24
	v_mul_f32_e32 v24, v9, v15
	v_mul_f32_e64 v15, v15, -v8
	s_wait_alu 0xfffd
	v_div_fmas_f32 v21, v21, v22, v23
	s_delay_alu instid0(VALU_DEP_3) | instskip(NEXT) | instid1(VALU_DEP_3)
	v_fmac_f32_e32 v24, v8, v14
	v_fmac_f32_e32 v15, v9, v14
	v_add_nc_u32_e32 v8, v19, v10
	s_delay_alu instid0(VALU_DEP_4) | instskip(NEXT) | instid1(VALU_DEP_1)
	v_div_fixup_f32 v11, v21, v11, 1.0
	v_mul_f32_e32 v10, v24, v11
	s_delay_alu instid0(VALU_DEP_4)
	v_mul_f32_e32 v11, v15, v11
	global_store_b64 v[12:13], v[10:11], off
	v_cmpx_lt_i32_e64 v8, v20
	s_cbranch_execz .LBB28_38
; %bb.44:                               ;   in Loop: Header=BB28_40 Depth=1
	s_mov_b32 s24, 0
	s_branch .LBB28_46
.LBB28_45:                              ;   in Loop: Header=BB28_46 Depth=2
	s_wait_alu 0xfffe
	s_or_b32 exec_lo, exec_lo, s25
	v_add_nc_u32_e32 v8, 32, v8
	s_delay_alu instid0(VALU_DEP_1)
	v_cmp_ge_i32_e32 vcc_lo, v8, v20
	s_or_b32 s24, vcc_lo, s24
	s_wait_alu 0xfffe
	s_and_not1_b32 exec_lo, exec_lo, s24
	s_cbranch_execz .LBB28_38
.LBB28_46:                              ;   Parent Loop BB28_40 Depth=1
                                        ; =>  This Loop Header: Depth=2
                                        ;       Child Loop BB28_55 Depth 3
	v_ashrrev_i32_e32 v9, 31, v8
	s_mov_b32 s25, 0
                                        ; implicit-def: $sgpr26
                                        ; implicit-def: $sgpr27
                                        ; implicit-def: $sgpr30
	s_delay_alu instid0(VALU_DEP_1) | instskip(NEXT) | instid1(VALU_DEP_1)
	v_lshlrev_b64_e32 v[12:13], 2, v[8:9]
	v_add_co_u32 v12, vcc_lo, s6, v12
	s_wait_alu 0xfffd
	s_delay_alu instid0(VALU_DEP_2)
	v_add_co_ci_u32_e64 v13, null, s7, v13, vcc_lo
	global_load_b32 v12, v[12:13], off
	v_mov_b32_e32 v13, 64
	s_wait_loadcnt 0x0
	v_mul_lo_u32 v15, v12, 39
	s_branch .LBB28_55
.LBB28_47:                              ;   in Loop: Header=BB28_55 Depth=3
	s_or_b32 exec_lo, exec_lo, s41
	s_delay_alu instid0(SALU_CYCLE_1)
	s_or_not1_b32 s39, s39, exec_lo
	s_or_not1_b32 s40, s40, exec_lo
.LBB28_48:                              ;   in Loop: Header=BB28_55 Depth=3
	s_or_b32 exec_lo, exec_lo, s38
	s_delay_alu instid0(SALU_CYCLE_1)
	s_and_b32 s39, s39, exec_lo
	s_or_not1_b32 s38, s40, exec_lo
.LBB28_49:                              ;   in Loop: Header=BB28_55 Depth=3
	s_or_b32 exec_lo, exec_lo, s37
	s_delay_alu instid0(SALU_CYCLE_1)
	s_or_not1_b32 s37, s39, exec_lo
	s_or_not1_b32 s38, s38, exec_lo
.LBB28_50:                              ;   in Loop: Header=BB28_55 Depth=3
	s_or_b32 exec_lo, exec_lo, s36
	s_delay_alu instid0(SALU_CYCLE_1)
	s_and_b32 s37, s37, exec_lo
	s_or_not1_b32 s36, s38, exec_lo
.LBB28_51:                              ;   in Loop: Header=BB28_55 Depth=3
	s_or_b32 exec_lo, exec_lo, s35
	s_delay_alu instid0(SALU_CYCLE_1)
	s_or_not1_b32 s35, s37, exec_lo
	s_or_not1_b32 s36, s36, exec_lo
.LBB28_52:                              ;   in Loop: Header=BB28_55 Depth=3
	s_or_b32 exec_lo, exec_lo, s34
	s_delay_alu instid0(SALU_CYCLE_1)
	s_and_b32 s35, s35, exec_lo
	s_or_not1_b32 s34, s36, exec_lo
.LBB28_53:                              ;   in Loop: Header=BB28_55 Depth=3
	s_or_b32 exec_lo, exec_lo, s33
	s_delay_alu instid0(SALU_CYCLE_1)
	s_and_not1_b32 s30, s30, exec_lo
	s_and_b32 s33, s35, exec_lo
	s_and_not1_b32 s27, s27, exec_lo
	s_and_b32 s34, s34, exec_lo
	s_or_b32 s30, s30, s33
	s_or_b32 s27, s27, s34
.LBB28_54:                              ;   in Loop: Header=BB28_55 Depth=3
	s_or_b32 exec_lo, exec_lo, s31
	s_delay_alu instid0(SALU_CYCLE_1) | instskip(SKIP_4) | instid1(SALU_CYCLE_1)
	s_and_b32 s31, exec_lo, s27
	s_wait_alu 0xfffe
	s_or_b32 s25, s31, s25
	s_and_not1_b32 s26, s26, exec_lo
	s_and_b32 s31, s30, exec_lo
	s_or_b32 s26, s26, s31
	s_wait_alu 0xfffe
	s_and_not1_b32 exec_lo, exec_lo, s25
	s_cbranch_execz .LBB28_64
.LBB28_55:                              ;   Parent Loop BB28_40 Depth=1
                                        ;     Parent Loop BB28_46 Depth=2
                                        ; =>    This Inner Loop Header: Depth=3
	s_delay_alu instid0(VALU_DEP_1) | instskip(SKIP_3) | instid1(VALU_DEP_1)
	v_and_b32_e32 v14, 63, v15
	s_or_b32 s30, s30, exec_lo
	s_or_b32 s27, s27, exec_lo
	s_mov_b32 s31, exec_lo
	v_lshl_add_u32 v21, v14, 2, v18
	ds_load_b32 v21, v21
	s_wait_dscnt 0x0
	v_cmpx_ne_u32_e32 -1, v21
	s_cbranch_execz .LBB28_54
; %bb.56:                               ;   in Loop: Header=BB28_55 Depth=3
	s_mov_b32 s34, -1
	s_mov_b32 s35, 0
	s_mov_b32 s33, exec_lo
	v_cmpx_ne_u32_e64 v21, v12
	s_cbranch_execz .LBB28_53
; %bb.57:                               ;   in Loop: Header=BB28_55 Depth=3
	v_add_nc_u32_e32 v14, 1, v15
	s_mov_b32 s36, -1
	s_mov_b32 s35, -1
	s_mov_b32 s34, exec_lo
	s_delay_alu instid0(VALU_DEP_1) | instskip(NEXT) | instid1(VALU_DEP_1)
	v_and_b32_e32 v14, 63, v14
	v_lshl_add_u32 v21, v14, 2, v18
	ds_load_b32 v21, v21
	s_wait_dscnt 0x0
	v_cmpx_ne_u32_e32 -1, v21
	s_cbranch_execz .LBB28_52
; %bb.58:                               ;   in Loop: Header=BB28_55 Depth=3
	s_mov_b32 s37, 0
	s_mov_b32 s35, exec_lo
	v_cmpx_ne_u32_e64 v21, v12
	s_cbranch_execz .LBB28_51
; %bb.59:                               ;   in Loop: Header=BB28_55 Depth=3
	v_add_nc_u32_e32 v14, 2, v15
	s_mov_b32 s38, -1
	s_mov_b32 s37, -1
	s_mov_b32 s36, exec_lo
	s_delay_alu instid0(VALU_DEP_1) | instskip(NEXT) | instid1(VALU_DEP_1)
	v_and_b32_e32 v14, 63, v14
	v_lshl_add_u32 v21, v14, 2, v18
	ds_load_b32 v21, v21
	s_wait_dscnt 0x0
	v_cmpx_ne_u32_e32 -1, v21
	s_cbranch_execz .LBB28_50
; %bb.60:                               ;   in Loop: Header=BB28_55 Depth=3
	s_mov_b32 s39, 0
	s_mov_b32 s37, exec_lo
	v_cmpx_ne_u32_e64 v21, v12
	s_cbranch_execz .LBB28_49
; %bb.61:                               ;   in Loop: Header=BB28_55 Depth=3
	v_add_nc_u32_e32 v14, 3, v15
	s_mov_b32 s40, -1
	s_mov_b32 s39, -1
	s_mov_b32 s38, exec_lo
	s_delay_alu instid0(VALU_DEP_1) | instskip(NEXT) | instid1(VALU_DEP_1)
	v_and_b32_e32 v14, 63, v14
	v_lshl_add_u32 v15, v14, 2, v18
	ds_load_b32 v21, v15
                                        ; implicit-def: $vgpr15
	s_wait_dscnt 0x0
	v_cmpx_ne_u32_e32 -1, v21
	s_cbranch_execz .LBB28_48
; %bb.62:                               ;   in Loop: Header=BB28_55 Depth=3
	s_mov_b32 s39, 0
	s_mov_b32 s41, exec_lo
                                        ; implicit-def: $vgpr15
	v_cmpx_ne_u32_e64 v21, v12
	s_cbranch_execz .LBB28_47
; %bb.63:                               ;   in Loop: Header=BB28_55 Depth=3
	v_add_nc_u32_e32 v13, -4, v13
	v_add_nc_u32_e32 v15, 1, v14
	s_mov_b32 s39, exec_lo
	s_delay_alu instid0(VALU_DEP_2)
	v_cmp_eq_u32_e32 vcc_lo, 0, v13
	s_or_not1_b32 s40, vcc_lo, exec_lo
	s_branch .LBB28_47
.LBB28_64:                              ;   in Loop: Header=BB28_46 Depth=2
	s_or_b32 exec_lo, exec_lo, s25
	s_xor_b32 s25, s26, -1
	s_wait_alu 0xfffe
	s_and_saveexec_b32 s26, s25
	s_delay_alu instid0(SALU_CYCLE_1)
	s_xor_b32 s25, exec_lo, s26
	s_cbranch_execz .LBB28_45
; %bb.65:                               ;   in Loop: Header=BB28_46 Depth=2
	v_lshl_add_u32 v12, v14, 2, v0
	v_lshlrev_b64_e32 v[14:15], 3, v[8:9]
	ds_load_b32 v12, v12
	v_add_co_u32 v14, vcc_lo, s8, v14
	s_wait_alu 0xfffd
	v_add_co_ci_u32_e64 v15, null, s9, v15, vcc_lo
	s_wait_dscnt 0x0
	v_ashrrev_i32_e32 v13, 31, v12
	s_delay_alu instid0(VALU_DEP_1) | instskip(NEXT) | instid1(VALU_DEP_1)
	v_lshlrev_b64_e32 v[12:13], 3, v[12:13]
	v_add_co_u32 v12, vcc_lo, s8, v12
	s_wait_alu 0xfffd
	s_delay_alu instid0(VALU_DEP_2)
	v_add_co_ci_u32_e64 v13, null, s9, v13, vcc_lo
	s_clause 0x1
	global_load_b64 v[14:15], v[14:15], off
	global_load_b64 v[21:22], v[12:13], off
	s_wait_loadcnt 0x0
	v_fma_f32 v21, -v10, v14, v21
	v_fma_f32 v9, -v11, v14, v22
	s_delay_alu instid0(VALU_DEP_2) | instskip(NEXT) | instid1(VALU_DEP_2)
	v_fmac_f32_e32 v21, v11, v15
	v_fma_f32 v22, -v10, v15, v9
	global_store_b64 v[12:13], v[21:22], off
	s_branch .LBB28_45
.LBB28_66:
	s_or_b32 exec_lo, exec_lo, s14
	s_delay_alu instid0(SALU_CYCLE_1)
	s_mov_b32 s4, exec_lo
	s_wait_loadcnt 0x0
	s_wait_storecnt 0x0
	global_inv scope:SCOPE_SE
	v_cmpx_lt_i32_e32 -1, v6
	s_cbranch_execz .LBB28_88
; %bb.67:
	v_mov_b32_e32 v7, 0
	s_mov_b32 s2, exec_lo
	s_delay_alu instid0(VALU_DEP_1) | instskip(NEXT) | instid1(VALU_DEP_1)
	v_lshlrev_b64_e32 v[8:9], 3, v[6:7]
	v_add_co_u32 v10, vcc_lo, s8, v8
	s_wait_alu 0xfffd
	s_delay_alu instid0(VALU_DEP_2)
	v_add_co_ci_u32_e64 v11, null, s9, v9, vcc_lo
	global_load_b64 v[8:9], v[10:11], off
	s_wait_loadcnt 0x0
	v_cmp_gt_f32_e32 vcc_lo, 0, v8
	s_wait_alu 0xfffd
	v_cndmask_b32_e64 v0, v8, -v8, vcc_lo
	v_cmp_gt_f32_e32 vcc_lo, 0, v9
	s_wait_alu 0xfffd
	v_cndmask_b32_e64 v6, v9, -v9, vcc_lo
	s_delay_alu instid0(VALU_DEP_1)
	v_cmpx_ngt_f32_e32 v0, v6
	s_wait_alu 0xfffe
	s_xor_b32 s5, exec_lo, s2
	s_cbranch_execz .LBB28_71
; %bb.68:
	s_mov_b32 s6, exec_lo
	v_cmpx_neq_f32_e32 0, v9
	s_cbranch_execz .LBB28_70
; %bb.69:
	v_div_scale_f32 v7, null, v6, v6, v0
	v_div_scale_f32 v14, vcc_lo, v0, v6, v0
	s_delay_alu instid0(VALU_DEP_2) | instskip(NEXT) | instid1(TRANS32_DEP_1)
	v_rcp_f32_e32 v12, v7
	v_fma_f32 v13, -v7, v12, 1.0
	s_delay_alu instid0(VALU_DEP_1) | instskip(NEXT) | instid1(VALU_DEP_1)
	v_fmac_f32_e32 v12, v13, v12
	v_mul_f32_e32 v13, v14, v12
	s_delay_alu instid0(VALU_DEP_1) | instskip(NEXT) | instid1(VALU_DEP_1)
	v_fma_f32 v15, -v7, v13, v14
	v_fmac_f32_e32 v13, v15, v12
	s_delay_alu instid0(VALU_DEP_1) | instskip(SKIP_1) | instid1(VALU_DEP_1)
	v_fma_f32 v7, -v7, v13, v14
	s_wait_alu 0xfffd
	v_div_fmas_f32 v7, v7, v12, v13
	s_delay_alu instid0(VALU_DEP_1) | instskip(NEXT) | instid1(VALU_DEP_1)
	v_div_fixup_f32 v0, v7, v6, v0
	v_fma_f32 v0, v0, v0, 1.0
	s_delay_alu instid0(VALU_DEP_1) | instskip(SKIP_2) | instid1(VALU_DEP_2)
	v_mul_f32_e32 v7, 0x4f800000, v0
	v_cmp_gt_f32_e32 vcc_lo, 0xf800000, v0
	s_wait_alu 0xfffd
	v_cndmask_b32_e32 v0, v0, v7, vcc_lo
	s_delay_alu instid0(VALU_DEP_1) | instskip(NEXT) | instid1(TRANS32_DEP_1)
	v_sqrt_f32_e32 v7, v0
	v_add_nc_u32_e32 v12, -1, v7
	v_add_nc_u32_e32 v13, 1, v7
	s_delay_alu instid0(VALU_DEP_2) | instskip(NEXT) | instid1(VALU_DEP_2)
	v_fma_f32 v14, -v12, v7, v0
	v_fma_f32 v15, -v13, v7, v0
	s_delay_alu instid0(VALU_DEP_2) | instskip(SKIP_1) | instid1(VALU_DEP_1)
	v_cmp_ge_f32_e64 s2, 0, v14
	s_wait_alu 0xf1ff
	v_cndmask_b32_e64 v7, v7, v12, s2
	s_delay_alu instid0(VALU_DEP_3) | instskip(SKIP_1) | instid1(VALU_DEP_1)
	v_cmp_lt_f32_e64 s2, 0, v15
	s_wait_alu 0xf1ff
	v_cndmask_b32_e64 v7, v7, v13, s2
	s_delay_alu instid0(VALU_DEP_1) | instskip(NEXT) | instid1(VALU_DEP_1)
	v_mul_f32_e32 v12, 0x37800000, v7
	v_cndmask_b32_e32 v7, v7, v12, vcc_lo
	v_cmp_class_f32_e64 vcc_lo, v0, 0x260
	s_wait_alu 0xfffd
	s_delay_alu instid0(VALU_DEP_2) | instskip(NEXT) | instid1(VALU_DEP_1)
	v_cndmask_b32_e32 v0, v7, v0, vcc_lo
	v_mul_f32_e32 v7, v6, v0
.LBB28_70:
	s_wait_alu 0xfffe
	s_or_b32 exec_lo, exec_lo, s6
                                        ; implicit-def: $vgpr0
                                        ; implicit-def: $vgpr6
.LBB28_71:
	s_wait_alu 0xfffe
	s_and_not1_saveexec_b32 s5, s5
	s_cbranch_execz .LBB28_73
; %bb.72:
	v_div_scale_f32 v7, null, v0, v0, v6
	v_div_scale_f32 v14, vcc_lo, v6, v0, v6
	s_delay_alu instid0(VALU_DEP_2) | instskip(NEXT) | instid1(TRANS32_DEP_1)
	v_rcp_f32_e32 v12, v7
	v_fma_f32 v13, -v7, v12, 1.0
	s_delay_alu instid0(VALU_DEP_1) | instskip(NEXT) | instid1(VALU_DEP_1)
	v_fmac_f32_e32 v12, v13, v12
	v_mul_f32_e32 v13, v14, v12
	s_delay_alu instid0(VALU_DEP_1) | instskip(NEXT) | instid1(VALU_DEP_1)
	v_fma_f32 v15, -v7, v13, v14
	v_fmac_f32_e32 v13, v15, v12
	s_delay_alu instid0(VALU_DEP_1) | instskip(SKIP_1) | instid1(VALU_DEP_1)
	v_fma_f32 v7, -v7, v13, v14
	s_wait_alu 0xfffd
	v_div_fmas_f32 v7, v7, v12, v13
	s_delay_alu instid0(VALU_DEP_1) | instskip(NEXT) | instid1(VALU_DEP_1)
	v_div_fixup_f32 v6, v7, v0, v6
	v_fma_f32 v6, v6, v6, 1.0
	s_delay_alu instid0(VALU_DEP_1) | instskip(SKIP_2) | instid1(VALU_DEP_2)
	v_mul_f32_e32 v7, 0x4f800000, v6
	v_cmp_gt_f32_e32 vcc_lo, 0xf800000, v6
	s_wait_alu 0xfffd
	v_cndmask_b32_e32 v6, v6, v7, vcc_lo
	s_delay_alu instid0(VALU_DEP_1) | instskip(NEXT) | instid1(TRANS32_DEP_1)
	v_sqrt_f32_e32 v7, v6
	v_add_nc_u32_e32 v12, -1, v7
	v_add_nc_u32_e32 v13, 1, v7
	s_delay_alu instid0(VALU_DEP_2) | instskip(NEXT) | instid1(VALU_DEP_2)
	v_fma_f32 v14, -v12, v7, v6
	v_fma_f32 v15, -v13, v7, v6
	s_delay_alu instid0(VALU_DEP_2) | instskip(SKIP_1) | instid1(VALU_DEP_1)
	v_cmp_ge_f32_e64 s2, 0, v14
	s_wait_alu 0xf1ff
	v_cndmask_b32_e64 v7, v7, v12, s2
	s_delay_alu instid0(VALU_DEP_3) | instskip(SKIP_1) | instid1(VALU_DEP_1)
	v_cmp_lt_f32_e64 s2, 0, v15
	s_wait_alu 0xf1ff
	v_cndmask_b32_e64 v7, v7, v13, s2
	s_delay_alu instid0(VALU_DEP_1) | instskip(NEXT) | instid1(VALU_DEP_1)
	v_mul_f32_e32 v12, 0x37800000, v7
	v_cndmask_b32_e32 v7, v7, v12, vcc_lo
	v_cmp_class_f32_e64 vcc_lo, v6, 0x260
	s_wait_alu 0xfffd
	s_delay_alu instid0(VALU_DEP_2) | instskip(NEXT) | instid1(VALU_DEP_1)
	v_cndmask_b32_e32 v6, v7, v6, vcc_lo
	v_mul_f32_e32 v7, v0, v6
.LBB28_73:
	s_wait_alu 0xfffe
	s_or_b32 exec_lo, exec_lo, s5
	s_delay_alu instid0(VALU_DEP_1)
	v_cvt_f64_f32_e32 v[6:7], v7
	v_cmp_ne_u32_e32 vcc_lo, 1, v17
	v_cmp_eq_u32_e64 s2, 0, v16
	s_mov_b32 s5, -1
	s_cbranch_vccnz .LBB28_77
; %bb.74:
	v_cvt_f64_f32_e32 v[12:13], s29
	s_cmp_eq_u64 s[20:21], 8
	s_cselect_b32 vcc_lo, -1, 0
	s_wait_alu 0xfffe
	s_delay_alu instid0(VALU_DEP_1) | instskip(NEXT) | instid1(VALU_DEP_1)
	v_dual_cndmask_b32 v4, v13, v4 :: v_dual_cndmask_b32 v3, v12, v3
	v_cmp_ge_f64_e32 vcc_lo, v[3:4], v[6:7]
	s_and_b32 s6, s2, vcc_lo
	s_wait_alu 0xfffe
	s_and_saveexec_b32 s5, s6
	s_cbranch_execz .LBB28_76
; %bb.75:
	v_dual_mov_b32 v3, s3 :: v_dual_mov_b32 v4, s22
	global_store_b64 v[10:11], v[3:4], off
	s_wait_storecnt 0x0
	global_inv scope:SCOPE_DEV
.LBB28_76:
	s_wait_alu 0xfffe
	s_or_b32 exec_lo, exec_lo, s5
	s_mov_b32 s5, 0
.LBB28_77:
	s_wait_alu 0xfffe
	s_and_not1_b32 vcc_lo, exec_lo, s5
	s_wait_alu 0xfffe
	s_cbranch_vccnz .LBB28_88
; %bb.78:
	s_load_b64 s[0:1], s[0:1], 0x48
	v_add_nc_u32_e32 v0, s28, v5
	s_wait_kmcnt 0x0
	v_cmp_ge_f64_e32 vcc_lo, s[0:1], v[6:7]
	s_and_b32 s1, s2, vcc_lo
	s_wait_alu 0xfffe
	s_and_saveexec_b32 s0, s1
	s_cbranch_execz .LBB28_83
; %bb.79:
	s_mov_b32 s3, exec_lo
	s_brev_b32 s1, -2
.LBB28_80:                              ; =>This Inner Loop Header: Depth=1
	s_wait_alu 0xfffe
	s_ctz_i32_b32 s5, s3
	s_wait_alu 0xfffe
	v_readlane_b32 s6, v0, s5
	s_lshl_b32 s5, 1, s5
	s_wait_alu 0xfffe
	s_and_not1_b32 s3, s3, s5
	s_min_i32 s1, s1, s6
	s_wait_alu 0xfffe
	s_cmp_lg_u32 s3, 0
	s_cbranch_scc1 .LBB28_80
; %bb.81:
	v_mbcnt_lo_u32_b32 v3, exec_lo, 0
	s_mov_b32 s3, exec_lo
	s_delay_alu instid0(VALU_DEP_1)
	v_cmpx_eq_u32_e32 0, v3
	s_wait_alu 0xfffe
	s_xor_b32 s3, exec_lo, s3
	s_cbranch_execz .LBB28_83
; %bb.82:
	v_dual_mov_b32 v3, 0 :: v_dual_mov_b32 v4, s1
	global_atomic_min_i32 v3, v4, s[18:19] scope:SCOPE_DEV
.LBB28_83:
	s_wait_alu 0xfffe
	s_or_b32 exec_lo, exec_lo, s0
	v_cmp_eq_f32_e32 vcc_lo, 0, v8
	v_cmp_eq_f32_e64 s0, 0, v9
	s_and_b32 s0, vcc_lo, s0
	s_wait_alu 0xfffe
	s_and_b32 s0, s2, s0
	s_wait_alu 0xfffe
	s_and_b32 exec_lo, exec_lo, s0
	s_cbranch_execz .LBB28_88
; %bb.84:
	s_mov_b32 s1, exec_lo
	s_brev_b32 s0, -2
.LBB28_85:                              ; =>This Inner Loop Header: Depth=1
	s_wait_alu 0xfffe
	s_ctz_i32_b32 s2, s1
	s_wait_alu 0xfffe
	v_readlane_b32 s3, v0, s2
	s_lshl_b32 s2, 1, s2
	s_wait_alu 0xfffe
	s_and_not1_b32 s1, s1, s2
	s_min_i32 s0, s0, s3
	s_wait_alu 0xfffe
	s_cmp_lg_u32 s1, 0
	s_cbranch_scc1 .LBB28_85
; %bb.86:
	v_mbcnt_lo_u32_b32 v0, exec_lo, 0
	s_mov_b32 s1, exec_lo
	s_delay_alu instid0(VALU_DEP_1)
	v_cmpx_eq_u32_e32 0, v0
	s_wait_alu 0xfffe
	s_xor_b32 s1, exec_lo, s1
	s_cbranch_execz .LBB28_88
; %bb.87:
	v_dual_mov_b32 v0, 0 :: v_dual_mov_b32 v3, s0
	global_atomic_min_i32 v0, v3, s[16:17] scope:SCOPE_DEV
.LBB28_88:
	s_wait_alu 0xfffe
	s_or_b32 exec_lo, exec_lo, s4
	v_cmp_eq_u32_e32 vcc_lo, 0, v16
	s_wait_loadcnt 0x0
	s_wait_storecnt 0x0
	global_inv scope:SCOPE_DEV
	s_and_b32 exec_lo, exec_lo, vcc_lo
	s_cbranch_execz .LBB28_90
; %bb.89:
	v_add_co_u32 v0, vcc_lo, s12, v1
	s_wait_alu 0xfffd
	v_add_co_ci_u32_e64 v1, null, s13, v2, vcc_lo
	v_mov_b32_e32 v2, 1
	s_wait_loadcnt 0x0
	global_store_b32 v[0:1], v2, off scope:SCOPE_DEV
.LBB28_90:
	s_endpgm
	.section	.rodata,"a",@progbits
	.p2align	6, 0x0
	.amdhsa_kernel _ZN9rocsparseL12csrilu0_hashILj256ELj32ELj2E21rocsparse_complex_numIfEEEviPKiS4_PT2_S4_PiS4_S7_S7_d21rocsparse_index_base_imNS_24const_host_device_scalarIfEENS9_IdEENS9_IS5_EEb
		.amdhsa_group_segment_fixed_size 4096
		.amdhsa_private_segment_fixed_size 0
		.amdhsa_kernarg_size 124
		.amdhsa_user_sgpr_count 2
		.amdhsa_user_sgpr_dispatch_ptr 0
		.amdhsa_user_sgpr_queue_ptr 0
		.amdhsa_user_sgpr_kernarg_segment_ptr 1
		.amdhsa_user_sgpr_dispatch_id 0
		.amdhsa_user_sgpr_private_segment_size 0
		.amdhsa_wavefront_size32 1
		.amdhsa_uses_dynamic_stack 0
		.amdhsa_enable_private_segment 0
		.amdhsa_system_sgpr_workgroup_id_x 1
		.amdhsa_system_sgpr_workgroup_id_y 0
		.amdhsa_system_sgpr_workgroup_id_z 0
		.amdhsa_system_sgpr_workgroup_info 0
		.amdhsa_system_vgpr_workitem_id 0
		.amdhsa_next_free_vgpr 26
		.amdhsa_next_free_sgpr 42
		.amdhsa_reserve_vcc 1
		.amdhsa_float_round_mode_32 0
		.amdhsa_float_round_mode_16_64 0
		.amdhsa_float_denorm_mode_32 3
		.amdhsa_float_denorm_mode_16_64 3
		.amdhsa_fp16_overflow 0
		.amdhsa_workgroup_processor_mode 1
		.amdhsa_memory_ordered 1
		.amdhsa_forward_progress 1
		.amdhsa_inst_pref_size 31
		.amdhsa_round_robin_scheduling 0
		.amdhsa_exception_fp_ieee_invalid_op 0
		.amdhsa_exception_fp_denorm_src 0
		.amdhsa_exception_fp_ieee_div_zero 0
		.amdhsa_exception_fp_ieee_overflow 0
		.amdhsa_exception_fp_ieee_underflow 0
		.amdhsa_exception_fp_ieee_inexact 0
		.amdhsa_exception_int_div_zero 0
	.end_amdhsa_kernel
	.section	.text._ZN9rocsparseL12csrilu0_hashILj256ELj32ELj2E21rocsparse_complex_numIfEEEviPKiS4_PT2_S4_PiS4_S7_S7_d21rocsparse_index_base_imNS_24const_host_device_scalarIfEENS9_IdEENS9_IS5_EEb,"axG",@progbits,_ZN9rocsparseL12csrilu0_hashILj256ELj32ELj2E21rocsparse_complex_numIfEEEviPKiS4_PT2_S4_PiS4_S7_S7_d21rocsparse_index_base_imNS_24const_host_device_scalarIfEENS9_IdEENS9_IS5_EEb,comdat
.Lfunc_end28:
	.size	_ZN9rocsparseL12csrilu0_hashILj256ELj32ELj2E21rocsparse_complex_numIfEEEviPKiS4_PT2_S4_PiS4_S7_S7_d21rocsparse_index_base_imNS_24const_host_device_scalarIfEENS9_IdEENS9_IS5_EEb, .Lfunc_end28-_ZN9rocsparseL12csrilu0_hashILj256ELj32ELj2E21rocsparse_complex_numIfEEEviPKiS4_PT2_S4_PiS4_S7_S7_d21rocsparse_index_base_imNS_24const_host_device_scalarIfEENS9_IdEENS9_IS5_EEb
                                        ; -- End function
	.set _ZN9rocsparseL12csrilu0_hashILj256ELj32ELj2E21rocsparse_complex_numIfEEEviPKiS4_PT2_S4_PiS4_S7_S7_d21rocsparse_index_base_imNS_24const_host_device_scalarIfEENS9_IdEENS9_IS5_EEb.num_vgpr, 26
	.set _ZN9rocsparseL12csrilu0_hashILj256ELj32ELj2E21rocsparse_complex_numIfEEEviPKiS4_PT2_S4_PiS4_S7_S7_d21rocsparse_index_base_imNS_24const_host_device_scalarIfEENS9_IdEENS9_IS5_EEb.num_agpr, 0
	.set _ZN9rocsparseL12csrilu0_hashILj256ELj32ELj2E21rocsparse_complex_numIfEEEviPKiS4_PT2_S4_PiS4_S7_S7_d21rocsparse_index_base_imNS_24const_host_device_scalarIfEENS9_IdEENS9_IS5_EEb.numbered_sgpr, 42
	.set _ZN9rocsparseL12csrilu0_hashILj256ELj32ELj2E21rocsparse_complex_numIfEEEviPKiS4_PT2_S4_PiS4_S7_S7_d21rocsparse_index_base_imNS_24const_host_device_scalarIfEENS9_IdEENS9_IS5_EEb.num_named_barrier, 0
	.set _ZN9rocsparseL12csrilu0_hashILj256ELj32ELj2E21rocsparse_complex_numIfEEEviPKiS4_PT2_S4_PiS4_S7_S7_d21rocsparse_index_base_imNS_24const_host_device_scalarIfEENS9_IdEENS9_IS5_EEb.private_seg_size, 0
	.set _ZN9rocsparseL12csrilu0_hashILj256ELj32ELj2E21rocsparse_complex_numIfEEEviPKiS4_PT2_S4_PiS4_S7_S7_d21rocsparse_index_base_imNS_24const_host_device_scalarIfEENS9_IdEENS9_IS5_EEb.uses_vcc, 1
	.set _ZN9rocsparseL12csrilu0_hashILj256ELj32ELj2E21rocsparse_complex_numIfEEEviPKiS4_PT2_S4_PiS4_S7_S7_d21rocsparse_index_base_imNS_24const_host_device_scalarIfEENS9_IdEENS9_IS5_EEb.uses_flat_scratch, 0
	.set _ZN9rocsparseL12csrilu0_hashILj256ELj32ELj2E21rocsparse_complex_numIfEEEviPKiS4_PT2_S4_PiS4_S7_S7_d21rocsparse_index_base_imNS_24const_host_device_scalarIfEENS9_IdEENS9_IS5_EEb.has_dyn_sized_stack, 0
	.set _ZN9rocsparseL12csrilu0_hashILj256ELj32ELj2E21rocsparse_complex_numIfEEEviPKiS4_PT2_S4_PiS4_S7_S7_d21rocsparse_index_base_imNS_24const_host_device_scalarIfEENS9_IdEENS9_IS5_EEb.has_recursion, 0
	.set _ZN9rocsparseL12csrilu0_hashILj256ELj32ELj2E21rocsparse_complex_numIfEEEviPKiS4_PT2_S4_PiS4_S7_S7_d21rocsparse_index_base_imNS_24const_host_device_scalarIfEENS9_IdEENS9_IS5_EEb.has_indirect_call, 0
	.section	.AMDGPU.csdata,"",@progbits
; Kernel info:
; codeLenInByte = 3932
; TotalNumSgprs: 44
; NumVgprs: 26
; ScratchSize: 0
; MemoryBound: 0
; FloatMode: 240
; IeeeMode: 1
; LDSByteSize: 4096 bytes/workgroup (compile time only)
; SGPRBlocks: 0
; VGPRBlocks: 3
; NumSGPRsForWavesPerEU: 44
; NumVGPRsForWavesPerEU: 26
; Occupancy: 16
; WaveLimiterHint : 1
; COMPUTE_PGM_RSRC2:SCRATCH_EN: 0
; COMPUTE_PGM_RSRC2:USER_SGPR: 2
; COMPUTE_PGM_RSRC2:TRAP_HANDLER: 0
; COMPUTE_PGM_RSRC2:TGID_X_EN: 1
; COMPUTE_PGM_RSRC2:TGID_Y_EN: 0
; COMPUTE_PGM_RSRC2:TGID_Z_EN: 0
; COMPUTE_PGM_RSRC2:TIDIG_COMP_CNT: 0
	.section	.text._ZN9rocsparseL12csrilu0_hashILj256ELj32ELj4E21rocsparse_complex_numIfEEEviPKiS4_PT2_S4_PiS4_S7_S7_d21rocsparse_index_base_imNS_24const_host_device_scalarIfEENS9_IdEENS9_IS5_EEb,"axG",@progbits,_ZN9rocsparseL12csrilu0_hashILj256ELj32ELj4E21rocsparse_complex_numIfEEEviPKiS4_PT2_S4_PiS4_S7_S7_d21rocsparse_index_base_imNS_24const_host_device_scalarIfEENS9_IdEENS9_IS5_EEb,comdat
	.globl	_ZN9rocsparseL12csrilu0_hashILj256ELj32ELj4E21rocsparse_complex_numIfEEEviPKiS4_PT2_S4_PiS4_S7_S7_d21rocsparse_index_base_imNS_24const_host_device_scalarIfEENS9_IdEENS9_IS5_EEb ; -- Begin function _ZN9rocsparseL12csrilu0_hashILj256ELj32ELj4E21rocsparse_complex_numIfEEEviPKiS4_PT2_S4_PiS4_S7_S7_d21rocsparse_index_base_imNS_24const_host_device_scalarIfEENS9_IdEENS9_IS5_EEb
	.p2align	8
	.type	_ZN9rocsparseL12csrilu0_hashILj256ELj32ELj4E21rocsparse_complex_numIfEEEviPKiS4_PT2_S4_PiS4_S7_S7_d21rocsparse_index_base_imNS_24const_host_device_scalarIfEENS9_IdEENS9_IS5_EEb,@function
_ZN9rocsparseL12csrilu0_hashILj256ELj32ELj4E21rocsparse_complex_numIfEEEviPKiS4_PT2_S4_PiS4_S7_S7_d21rocsparse_index_base_imNS_24const_host_device_scalarIfEENS9_IdEENS9_IS5_EEb: ; @_ZN9rocsparseL12csrilu0_hashILj256ELj32ELj4E21rocsparse_complex_numIfEEEviPKiS4_PT2_S4_PiS4_S7_S7_d21rocsparse_index_base_imNS_24const_host_device_scalarIfEENS9_IdEENS9_IS5_EEb
; %bb.0:
	s_clause 0x2
	s_load_b32 s2, s[0:1], 0x78
	s_load_b64 s[28:29], s[0:1], 0x50
	s_load_b256 s[20:27], s[0:1], 0x58
	s_wait_kmcnt 0x0
	s_bitcmp1_b32 s2, 0
	s_cselect_b32 s4, -1, 0
	s_cmp_eq_u32 s29, 0
	s_cselect_b32 s2, -1, 0
	s_cmp_lg_u32 s29, 0
	s_cselect_b32 s5, -1, 0
	s_or_b32 s7, s2, s4
	s_delay_alu instid0(SALU_CYCLE_1)
	s_xor_b32 s6, s7, -1
	s_and_b32 s2, s2, exec_lo
	s_cselect_b32 s3, 0, s25
	s_cselect_b32 s2, 0, s24
	;; [unrolled: 1-line block ×3, first 2 shown]
	s_and_b32 vcc_lo, exec_lo, s7
	s_cbranch_vccnz .LBB29_2
; %bb.1:
	s_load_b32 s29, s[22:23], 0x0
	s_mov_b64 s[2:3], s[24:25]
.LBB29_2:
	s_delay_alu instid0(SALU_CYCLE_1)
	v_dual_mov_b32 v4, s3 :: v_dual_mov_b32 v3, s2
	s_and_not1_b32 vcc_lo, exec_lo, s6
	s_cbranch_vccnz .LBB29_4
; %bb.3:
	v_dual_mov_b32 v1, s24 :: v_dual_mov_b32 v2, s25
	flat_load_b64 v[3:4], v[1:2]
.LBB29_4:
	v_cndmask_b32_e64 v17, 0, 1, s5
	s_mov_b32 s3, 0
	s_and_not1_b32 vcc_lo, exec_lo, s5
	s_mov_b32 s22, 0
	s_cbranch_vccnz .LBB29_10
; %bb.5:
	s_xor_b32 s2, s4, -1
	s_mov_b32 s3, s26
	s_wait_alu 0xfffe
	v_cndmask_b32_e64 v1, 0, 1, s2
	s_and_not1_b32 vcc_lo, exec_lo, s2
	s_cbranch_vccnz .LBB29_7
; %bb.6:
	s_load_b32 s3, s[26:27], 0x0
.LBB29_7:
	s_delay_alu instid0(VALU_DEP_1)
	v_cmp_ne_u32_e32 vcc_lo, 1, v1
	s_cbranch_vccnz .LBB29_9
; %bb.8:
	s_load_b32 s27, s[26:27], 0x4
.LBB29_9:
	s_wait_kmcnt 0x0
	s_mov_b32 s22, s27
.LBB29_10:
	v_lshrrev_b32_e32 v1, 5, v0
	v_and_b32_e32 v16, 31, v0
	s_mov_b32 s2, 0
	s_delay_alu instid0(VALU_DEP_2) | instskip(NEXT) | instid1(VALU_DEP_2)
	v_lshlrev_b32_e32 v5, 9, v1
	v_lshlrev_b32_e32 v6, 2, v16
	v_or_b32_e32 v2, 0xffffffe0, v16
	s_delay_alu instid0(VALU_DEP_2)
	v_or3_b32 v5, v5, v6, 0x1000
	v_mov_b32_e32 v6, -1
.LBB29_11:                              ; =>This Inner Loop Header: Depth=1
	s_delay_alu instid0(VALU_DEP_3)
	v_add_nc_u32_e32 v2, 32, v2
	ds_store_b32 v5, v6
	v_add_nc_u32_e32 v5, 0x80, v5
	v_cmp_lt_u32_e32 vcc_lo, 0x5f, v2
	s_wait_alu 0xfffe
	s_or_b32 s2, vcc_lo, s2
	s_wait_alu 0xfffe
	s_and_not1_b32 exec_lo, exec_lo, s2
	s_cbranch_execnz .LBB29_11
; %bb.12:
	s_or_b32 exec_lo, exec_lo, s2
	s_load_b32 s2, s[0:1], 0x0
	s_lshl_b32 s4, ttmp9, 3
	s_wait_loadcnt_dscnt 0x0
	global_inv scope:SCOPE_SE
	s_wait_alu 0xfffe
	v_and_or_b32 v1, 0x7fffff8, s4, v1
	s_wait_kmcnt 0x0
	s_delay_alu instid0(VALU_DEP_1)
	v_cmp_gt_i32_e32 vcc_lo, s2, v1
	s_and_saveexec_b32 s2, vcc_lo
	s_cbranch_execz .LBB29_90
; %bb.13:
	s_load_b512 s[4:19], s[0:1], 0x8
	v_lshlrev_b32_e32 v1, 2, v1
	v_lshlrev_b32_e32 v0, 4, v0
	s_mov_b32 s2, exec_lo
	s_delay_alu instid0(VALU_DEP_1) | instskip(NEXT) | instid1(VALU_DEP_1)
	v_and_b32_e32 v0, 0xe00, v0
	v_or_b32_e32 v18, 0x1000, v0
	s_wait_kmcnt 0x0
	global_load_b32 v5, v1, s[14:15]
	s_wait_loadcnt 0x0
	v_ashrrev_i32_e32 v6, 31, v5
	s_delay_alu instid0(VALU_DEP_1) | instskip(NEXT) | instid1(VALU_DEP_1)
	v_lshlrev_b64_e32 v[1:2], 2, v[5:6]
	v_add_co_u32 v6, vcc_lo, s4, v1
	s_delay_alu instid0(VALU_DEP_1)
	v_add_co_ci_u32_e64 v7, null, s5, v2, vcc_lo
	v_add_co_u32 v9, vcc_lo, s10, v1
	s_wait_alu 0xfffd
	v_add_co_ci_u32_e64 v10, null, s11, v2, vcc_lo
	global_load_b64 v[7:8], v[6:7], off
	global_load_b32 v6, v[9:10], off
	s_wait_loadcnt 0x1
	v_subrev_nc_u32_e32 v7, s28, v7
	v_subrev_nc_u32_e32 v10, s28, v8
	s_delay_alu instid0(VALU_DEP_2) | instskip(NEXT) | instid1(VALU_DEP_1)
	v_add_nc_u32_e32 v8, v7, v16
	v_cmpx_lt_i32_e64 v8, v10
	s_cbranch_execz .LBB29_36
; %bb.14:
	v_mov_b32_e32 v11, -1
	s_mov_b32 s14, 0
	s_branch .LBB29_16
.LBB29_15:                              ;   in Loop: Header=BB29_16 Depth=1
	s_or_b32 exec_lo, exec_lo, s15
	v_add_nc_u32_e32 v8, 32, v8
	s_delay_alu instid0(VALU_DEP_1) | instskip(SKIP_1) | instid1(SALU_CYCLE_1)
	v_cmp_ge_i32_e32 vcc_lo, v8, v10
	s_or_b32 s14, vcc_lo, s14
	s_and_not1_b32 exec_lo, exec_lo, s14
	s_cbranch_execz .LBB29_36
.LBB29_16:                              ; =>This Loop Header: Depth=1
                                        ;     Child Loop BB29_25 Depth 2
	v_ashrrev_i32_e32 v9, 31, v8
	s_mov_b32 s15, 0
                                        ; implicit-def: $sgpr23
                                        ; implicit-def: $sgpr24
                                        ; implicit-def: $sgpr25
	s_delay_alu instid0(VALU_DEP_1) | instskip(NEXT) | instid1(VALU_DEP_1)
	v_lshlrev_b64_e32 v[12:13], 2, v[8:9]
	v_add_co_u32 v12, vcc_lo, s6, v12
	s_wait_alu 0xfffd
	s_delay_alu instid0(VALU_DEP_2)
	v_add_co_ci_u32_e64 v13, null, s7, v13, vcc_lo
	global_load_b32 v9, v[12:13], off
	v_mov_b32_e32 v12, 0x80
	s_wait_loadcnt 0x0
	v_mul_lo_u32 v14, 0x67, v9
	s_branch .LBB29_25
.LBB29_17:                              ;   in Loop: Header=BB29_25 Depth=2
	s_or_b32 exec_lo, exec_lo, s38
	s_delay_alu instid0(SALU_CYCLE_1)
	s_or_not1_b32 s36, s36, exec_lo
	s_or_not1_b32 s37, s37, exec_lo
.LBB29_18:                              ;   in Loop: Header=BB29_25 Depth=2
	s_or_b32 exec_lo, exec_lo, s35
	s_delay_alu instid0(SALU_CYCLE_1)
	s_and_b32 s36, s36, exec_lo
	s_or_not1_b32 s35, s37, exec_lo
.LBB29_19:                              ;   in Loop: Header=BB29_25 Depth=2
	s_or_b32 exec_lo, exec_lo, s34
	s_delay_alu instid0(SALU_CYCLE_1)
	s_or_not1_b32 s34, s36, exec_lo
	s_or_not1_b32 s35, s35, exec_lo
.LBB29_20:                              ;   in Loop: Header=BB29_25 Depth=2
	s_or_b32 exec_lo, exec_lo, s33
	s_delay_alu instid0(SALU_CYCLE_1)
	s_and_b32 s34, s34, exec_lo
	s_or_not1_b32 s33, s35, exec_lo
.LBB29_21:                              ;   in Loop: Header=BB29_25 Depth=2
	s_or_b32 exec_lo, exec_lo, s31
	s_delay_alu instid0(SALU_CYCLE_1)
	s_or_not1_b32 s31, s34, exec_lo
	s_or_not1_b32 s33, s33, exec_lo
.LBB29_22:                              ;   in Loop: Header=BB29_25 Depth=2
	s_or_b32 exec_lo, exec_lo, s30
	s_delay_alu instid0(SALU_CYCLE_1)
	s_and_b32 s31, s31, exec_lo
	s_or_not1_b32 s30, s33, exec_lo
.LBB29_23:                              ;   in Loop: Header=BB29_25 Depth=2
	s_or_b32 exec_lo, exec_lo, s27
	s_wait_alu 0xfffe
	s_and_not1_b32 s25, s25, exec_lo
	s_and_b32 s27, s31, exec_lo
	s_and_not1_b32 s24, s24, exec_lo
	s_and_b32 s30, s30, exec_lo
	s_wait_alu 0xfffe
	s_or_b32 s25, s25, s27
	s_or_b32 s24, s24, s30
.LBB29_24:                              ;   in Loop: Header=BB29_25 Depth=2
	s_or_b32 exec_lo, exec_lo, s26
	s_wait_alu 0xfffe
	s_and_b32 s26, exec_lo, s24
	s_delay_alu instid0(SALU_CYCLE_1) | instskip(SKIP_2) | instid1(SALU_CYCLE_1)
	s_or_b32 s15, s26, s15
	s_and_not1_b32 s23, s23, exec_lo
	s_and_b32 s26, s25, exec_lo
	s_or_b32 s23, s23, s26
	s_and_not1_b32 exec_lo, exec_lo, s15
	s_cbranch_execz .LBB29_34
.LBB29_25:                              ;   Parent Loop BB29_16 Depth=1
                                        ; =>  This Inner Loop Header: Depth=2
	s_delay_alu instid0(VALU_DEP_1) | instskip(SKIP_3) | instid1(VALU_DEP_1)
	v_and_b32_e32 v13, 0x7f, v14
	s_or_b32 s25, s25, exec_lo
	s_or_b32 s24, s24, exec_lo
	s_mov_b32 s26, exec_lo
	v_lshl_add_u32 v15, v13, 2, v18
	ds_load_b32 v19, v15
	s_wait_dscnt 0x0
	v_cmpx_ne_u32_e64 v19, v9
	s_cbranch_execz .LBB29_24
; %bb.26:                               ;   in Loop: Header=BB29_25 Depth=2
	ds_cmpstore_rtn_b32 v15, v15, v9, v11
	s_mov_b32 s30, -1
	s_mov_b32 s31, 0
	s_mov_b32 s27, exec_lo
	s_wait_dscnt 0x0
	v_cmpx_ne_u32_e32 -1, v15
	s_cbranch_execz .LBB29_23
; %bb.27:                               ;   in Loop: Header=BB29_25 Depth=2
	v_add_nc_u32_e32 v13, 1, v14
	s_mov_b32 s33, -1
	s_mov_b32 s31, -1
	s_mov_b32 s30, exec_lo
	s_delay_alu instid0(VALU_DEP_1) | instskip(NEXT) | instid1(VALU_DEP_1)
	v_and_b32_e32 v13, 0x7f, v13
	v_lshl_add_u32 v15, v13, 2, v18
	ds_load_b32 v19, v15
	s_wait_dscnt 0x0
	v_cmpx_ne_u32_e64 v19, v9
	s_cbranch_execz .LBB29_22
; %bb.28:                               ;   in Loop: Header=BB29_25 Depth=2
	ds_cmpstore_rtn_b32 v15, v15, v9, v11
	s_mov_b32 s34, 0
	s_mov_b32 s31, exec_lo
	s_wait_dscnt 0x0
	v_cmpx_ne_u32_e32 -1, v15
	s_cbranch_execz .LBB29_21
; %bb.29:                               ;   in Loop: Header=BB29_25 Depth=2
	v_add_nc_u32_e32 v13, 2, v14
	s_mov_b32 s35, -1
	s_mov_b32 s34, -1
	s_mov_b32 s33, exec_lo
	s_delay_alu instid0(VALU_DEP_1) | instskip(NEXT) | instid1(VALU_DEP_1)
	v_and_b32_e32 v13, 0x7f, v13
	v_lshl_add_u32 v15, v13, 2, v18
	ds_load_b32 v19, v15
	s_wait_dscnt 0x0
	v_cmpx_ne_u32_e64 v19, v9
	s_cbranch_execz .LBB29_20
; %bb.30:                               ;   in Loop: Header=BB29_25 Depth=2
	ds_cmpstore_rtn_b32 v15, v15, v9, v11
	s_mov_b32 s36, 0
	s_mov_b32 s34, exec_lo
	s_wait_dscnt 0x0
	v_cmpx_ne_u32_e32 -1, v15
	s_cbranch_execz .LBB29_19
; %bb.31:                               ;   in Loop: Header=BB29_25 Depth=2
	v_add_nc_u32_e32 v13, 3, v14
	s_mov_b32 s37, -1
	s_mov_b32 s36, -1
	s_delay_alu instid0(VALU_DEP_1) | instskip(NEXT) | instid1(VALU_DEP_1)
	v_and_b32_e32 v13, 0x7f, v13
	v_lshl_add_u32 v15, v13, 2, v18
	ds_load_b32 v14, v15
	s_wait_dscnt 0x0
	v_cmp_ne_u32_e32 vcc_lo, v14, v9
                                        ; implicit-def: $vgpr14
	s_and_saveexec_b32 s35, vcc_lo
	s_cbranch_execz .LBB29_18
; %bb.32:                               ;   in Loop: Header=BB29_25 Depth=2
	ds_cmpstore_rtn_b32 v14, v15, v9, v11
	s_mov_b32 s36, 0
	s_wait_dscnt 0x0
	v_cmp_ne_u32_e32 vcc_lo, -1, v14
                                        ; implicit-def: $vgpr14
	s_and_saveexec_b32 s38, vcc_lo
	s_cbranch_execz .LBB29_17
; %bb.33:                               ;   in Loop: Header=BB29_25 Depth=2
	v_add_nc_u32_e32 v12, -4, v12
	v_add_nc_u32_e32 v14, 1, v13
	s_mov_b32 s36, exec_lo
	s_delay_alu instid0(VALU_DEP_2)
	v_cmp_eq_u32_e32 vcc_lo, 0, v12
	s_or_not1_b32 s37, vcc_lo, exec_lo
	s_branch .LBB29_17
.LBB29_34:                              ;   in Loop: Header=BB29_16 Depth=1
	s_or_b32 exec_lo, exec_lo, s15
	s_xor_b32 s15, s23, -1
	s_delay_alu instid0(SALU_CYCLE_1) | instskip(NEXT) | instid1(SALU_CYCLE_1)
	s_and_saveexec_b32 s23, s15
	s_xor_b32 s15, exec_lo, s23
	s_cbranch_execz .LBB29_15
; %bb.35:                               ;   in Loop: Header=BB29_16 Depth=1
	v_lshl_add_u32 v9, v13, 2, v0
	ds_store_b32 v9, v8
	s_branch .LBB29_15
.LBB29_36:
	s_wait_alu 0xfffe
	s_or_b32 exec_lo, exec_lo, s2
	s_delay_alu instid0(SALU_CYCLE_1)
	s_mov_b32 s14, exec_lo
	s_wait_loadcnt_dscnt 0x0
	global_inv scope:SCOPE_SE
	v_cmpx_lt_i32_e64 v7, v6
	s_cbranch_execz .LBB29_66
; %bb.37:
	v_add_nc_u32_e32 v19, 1, v16
	s_mov_b32 s15, 0
	s_branch .LBB29_40
.LBB29_38:                              ;   in Loop: Header=BB29_40 Depth=1
	s_or_b32 exec_lo, exec_lo, s23
	v_add_nc_u32_e32 v7, 1, v7
	s_delay_alu instid0(VALU_DEP_1)
	v_cmp_ge_i32_e32 vcc_lo, v7, v6
	s_or_not1_b32 s23, vcc_lo, exec_lo
.LBB29_39:                              ;   in Loop: Header=BB29_40 Depth=1
	s_wait_alu 0xfffe
	s_or_b32 exec_lo, exec_lo, s2
	s_delay_alu instid0(SALU_CYCLE_1) | instskip(SKIP_2) | instid1(SALU_CYCLE_1)
	s_and_b32 s2, exec_lo, s23
	s_wait_alu 0xfffe
	s_or_b32 s15, s2, s15
	s_and_not1_b32 exec_lo, exec_lo, s15
	s_cbranch_execz .LBB29_66
.LBB29_40:                              ; =>This Loop Header: Depth=1
                                        ;     Child Loop BB29_41 Depth 2
                                        ;     Child Loop BB29_46 Depth 2
                                        ;       Child Loop BB29_55 Depth 3
	v_ashrrev_i32_e32 v8, 31, v7
	s_mov_b32 s2, 0
	s_delay_alu instid0(VALU_DEP_1) | instskip(SKIP_1) | instid1(VALU_DEP_2)
	v_lshlrev_b64_e32 v[9:10], 2, v[7:8]
	v_lshlrev_b64_e32 v[12:13], 3, v[7:8]
	v_add_co_u32 v9, vcc_lo, s6, v9
	s_wait_alu 0xfffd
	s_delay_alu instid0(VALU_DEP_3) | instskip(NEXT) | instid1(VALU_DEP_3)
	v_add_co_ci_u32_e64 v10, null, s7, v10, vcc_lo
	v_add_co_u32 v12, vcc_lo, s8, v12
	s_wait_alu 0xfffd
	v_add_co_ci_u32_e64 v13, null, s9, v13, vcc_lo
	global_load_b32 v9, v[9:10], off
	s_wait_loadcnt 0x0
	v_subrev_nc_u32_e32 v9, s28, v9
	s_delay_alu instid0(VALU_DEP_1) | instskip(NEXT) | instid1(VALU_DEP_1)
	v_ashrrev_i32_e32 v10, 31, v9
	v_lshlrev_b64_e32 v[10:11], 2, v[9:10]
	s_delay_alu instid0(VALU_DEP_1) | instskip(SKIP_1) | instid1(VALU_DEP_2)
	v_add_co_u32 v14, vcc_lo, s4, v10
	s_wait_alu 0xfffd
	v_add_co_ci_u32_e64 v15, null, s5, v11, vcc_lo
	v_add_co_u32 v20, vcc_lo, s10, v10
	s_wait_alu 0xfffd
	v_add_co_ci_u32_e64 v21, null, s11, v11, vcc_lo
	global_load_b64 v[8:9], v[12:13], off
	global_load_b32 v14, v[14:15], off offset:4
	global_load_b32 v15, v[20:21], off
	v_add_co_u32 v10, vcc_lo, s12, v10
	s_wait_alu 0xfffd
	v_add_co_ci_u32_e64 v11, null, s13, v11, vcc_lo
.LBB29_41:                              ;   Parent Loop BB29_40 Depth=1
                                        ; =>  This Inner Loop Header: Depth=2
	global_load_b32 v20, v[10:11], off scope:SCOPE_DEV
	s_wait_loadcnt 0x0
	v_cmp_ne_u32_e32 vcc_lo, 0, v20
	s_wait_alu 0xfffe
	s_or_b32 s2, vcc_lo, s2
	s_wait_alu 0xfffe
	s_and_not1_b32 exec_lo, exec_lo, s2
	s_cbranch_execnz .LBB29_41
; %bb.42:                               ;   in Loop: Header=BB29_40 Depth=1
	s_or_b32 exec_lo, exec_lo, s2
	v_subrev_nc_u32_e32 v20, s28, v14
	v_cmp_eq_u32_e32 vcc_lo, -1, v15
	global_inv scope:SCOPE_DEV
	s_mov_b32 s23, -1
	v_add_nc_u32_e32 v10, -1, v20
	s_wait_alu 0xfffd
	s_delay_alu instid0(VALU_DEP_1) | instskip(NEXT) | instid1(VALU_DEP_1)
	v_cndmask_b32_e32 v10, v15, v10, vcc_lo
	v_ashrrev_i32_e32 v11, 31, v10
	s_delay_alu instid0(VALU_DEP_1) | instskip(NEXT) | instid1(VALU_DEP_1)
	v_lshlrev_b64_e32 v[14:15], 3, v[10:11]
	v_add_co_u32 v14, vcc_lo, s8, v14
	s_wait_alu 0xfffd
	s_delay_alu instid0(VALU_DEP_2)
	v_add_co_ci_u32_e64 v15, null, s9, v15, vcc_lo
	global_load_b64 v[14:15], v[14:15], off
	s_wait_loadcnt 0x0
	v_cmp_neq_f32_e32 vcc_lo, 0, v14
	v_cmp_neq_f32_e64 s2, 0, v15
	s_or_b32 s24, vcc_lo, s2
	s_wait_alu 0xfffe
	s_and_saveexec_b32 s2, s24
	s_cbranch_execz .LBB29_39
; %bb.43:                               ;   in Loop: Header=BB29_40 Depth=1
	v_mul_f32_e32 v11, v15, v15
	s_mov_b32 s23, exec_lo
	s_delay_alu instid0(VALU_DEP_1) | instskip(NEXT) | instid1(VALU_DEP_1)
	v_fmac_f32_e32 v11, v14, v14
	v_div_scale_f32 v21, null, v11, v11, 1.0
	v_div_scale_f32 v24, vcc_lo, 1.0, v11, 1.0
	s_delay_alu instid0(VALU_DEP_2) | instskip(NEXT) | instid1(TRANS32_DEP_1)
	v_rcp_f32_e32 v22, v21
	v_fma_f32 v23, -v21, v22, 1.0
	s_delay_alu instid0(VALU_DEP_1) | instskip(NEXT) | instid1(VALU_DEP_1)
	v_fmac_f32_e32 v22, v23, v22
	v_mul_f32_e32 v23, v24, v22
	s_delay_alu instid0(VALU_DEP_1) | instskip(NEXT) | instid1(VALU_DEP_1)
	v_fma_f32 v25, -v21, v23, v24
	v_fmac_f32_e32 v23, v25, v22
	s_delay_alu instid0(VALU_DEP_1) | instskip(SKIP_3) | instid1(VALU_DEP_3)
	v_fma_f32 v21, -v21, v23, v24
	v_mul_f32_e32 v24, v9, v15
	v_mul_f32_e64 v15, v15, -v8
	s_wait_alu 0xfffd
	v_div_fmas_f32 v21, v21, v22, v23
	s_delay_alu instid0(VALU_DEP_3) | instskip(NEXT) | instid1(VALU_DEP_3)
	v_fmac_f32_e32 v24, v8, v14
	v_fmac_f32_e32 v15, v9, v14
	v_add_nc_u32_e32 v8, v19, v10
	s_delay_alu instid0(VALU_DEP_4) | instskip(NEXT) | instid1(VALU_DEP_1)
	v_div_fixup_f32 v11, v21, v11, 1.0
	v_mul_f32_e32 v10, v24, v11
	s_delay_alu instid0(VALU_DEP_4)
	v_mul_f32_e32 v11, v15, v11
	global_store_b64 v[12:13], v[10:11], off
	v_cmpx_lt_i32_e64 v8, v20
	s_cbranch_execz .LBB29_38
; %bb.44:                               ;   in Loop: Header=BB29_40 Depth=1
	s_mov_b32 s24, 0
	s_branch .LBB29_46
.LBB29_45:                              ;   in Loop: Header=BB29_46 Depth=2
	s_wait_alu 0xfffe
	s_or_b32 exec_lo, exec_lo, s25
	v_add_nc_u32_e32 v8, 32, v8
	s_delay_alu instid0(VALU_DEP_1)
	v_cmp_ge_i32_e32 vcc_lo, v8, v20
	s_or_b32 s24, vcc_lo, s24
	s_wait_alu 0xfffe
	s_and_not1_b32 exec_lo, exec_lo, s24
	s_cbranch_execz .LBB29_38
.LBB29_46:                              ;   Parent Loop BB29_40 Depth=1
                                        ; =>  This Loop Header: Depth=2
                                        ;       Child Loop BB29_55 Depth 3
	v_ashrrev_i32_e32 v9, 31, v8
	s_mov_b32 s25, 0
                                        ; implicit-def: $sgpr26
                                        ; implicit-def: $sgpr27
                                        ; implicit-def: $sgpr30
	s_delay_alu instid0(VALU_DEP_1) | instskip(NEXT) | instid1(VALU_DEP_1)
	v_lshlrev_b64_e32 v[12:13], 2, v[8:9]
	v_add_co_u32 v12, vcc_lo, s6, v12
	s_wait_alu 0xfffd
	s_delay_alu instid0(VALU_DEP_2)
	v_add_co_ci_u32_e64 v13, null, s7, v13, vcc_lo
	global_load_b32 v12, v[12:13], off
	v_mov_b32_e32 v13, 0x80
	s_wait_loadcnt 0x0
	v_mul_lo_u32 v15, 0x67, v12
	s_branch .LBB29_55
.LBB29_47:                              ;   in Loop: Header=BB29_55 Depth=3
	s_or_b32 exec_lo, exec_lo, s41
	s_delay_alu instid0(SALU_CYCLE_1)
	s_or_not1_b32 s39, s39, exec_lo
	s_or_not1_b32 s40, s40, exec_lo
.LBB29_48:                              ;   in Loop: Header=BB29_55 Depth=3
	s_or_b32 exec_lo, exec_lo, s38
	s_delay_alu instid0(SALU_CYCLE_1)
	s_and_b32 s39, s39, exec_lo
	s_or_not1_b32 s38, s40, exec_lo
.LBB29_49:                              ;   in Loop: Header=BB29_55 Depth=3
	s_or_b32 exec_lo, exec_lo, s37
	s_delay_alu instid0(SALU_CYCLE_1)
	s_or_not1_b32 s37, s39, exec_lo
	s_or_not1_b32 s38, s38, exec_lo
.LBB29_50:                              ;   in Loop: Header=BB29_55 Depth=3
	s_or_b32 exec_lo, exec_lo, s36
	s_delay_alu instid0(SALU_CYCLE_1)
	s_and_b32 s37, s37, exec_lo
	s_or_not1_b32 s36, s38, exec_lo
.LBB29_51:                              ;   in Loop: Header=BB29_55 Depth=3
	s_or_b32 exec_lo, exec_lo, s35
	s_delay_alu instid0(SALU_CYCLE_1)
	s_or_not1_b32 s35, s37, exec_lo
	s_or_not1_b32 s36, s36, exec_lo
.LBB29_52:                              ;   in Loop: Header=BB29_55 Depth=3
	s_or_b32 exec_lo, exec_lo, s34
	s_delay_alu instid0(SALU_CYCLE_1)
	s_and_b32 s35, s35, exec_lo
	s_or_not1_b32 s34, s36, exec_lo
.LBB29_53:                              ;   in Loop: Header=BB29_55 Depth=3
	s_or_b32 exec_lo, exec_lo, s33
	s_delay_alu instid0(SALU_CYCLE_1)
	s_and_not1_b32 s30, s30, exec_lo
	s_and_b32 s33, s35, exec_lo
	s_and_not1_b32 s27, s27, exec_lo
	s_and_b32 s34, s34, exec_lo
	s_or_b32 s30, s30, s33
	s_or_b32 s27, s27, s34
.LBB29_54:                              ;   in Loop: Header=BB29_55 Depth=3
	s_or_b32 exec_lo, exec_lo, s31
	s_delay_alu instid0(SALU_CYCLE_1) | instskip(SKIP_4) | instid1(SALU_CYCLE_1)
	s_and_b32 s31, exec_lo, s27
	s_wait_alu 0xfffe
	s_or_b32 s25, s31, s25
	s_and_not1_b32 s26, s26, exec_lo
	s_and_b32 s31, s30, exec_lo
	s_or_b32 s26, s26, s31
	s_wait_alu 0xfffe
	s_and_not1_b32 exec_lo, exec_lo, s25
	s_cbranch_execz .LBB29_64
.LBB29_55:                              ;   Parent Loop BB29_40 Depth=1
                                        ;     Parent Loop BB29_46 Depth=2
                                        ; =>    This Inner Loop Header: Depth=3
	s_delay_alu instid0(VALU_DEP_1) | instskip(SKIP_3) | instid1(VALU_DEP_1)
	v_and_b32_e32 v14, 0x7f, v15
	s_or_b32 s30, s30, exec_lo
	s_or_b32 s27, s27, exec_lo
	s_mov_b32 s31, exec_lo
	v_lshl_add_u32 v21, v14, 2, v18
	ds_load_b32 v21, v21
	s_wait_dscnt 0x0
	v_cmpx_ne_u32_e32 -1, v21
	s_cbranch_execz .LBB29_54
; %bb.56:                               ;   in Loop: Header=BB29_55 Depth=3
	s_mov_b32 s34, -1
	s_mov_b32 s35, 0
	s_mov_b32 s33, exec_lo
	v_cmpx_ne_u32_e64 v21, v12
	s_cbranch_execz .LBB29_53
; %bb.57:                               ;   in Loop: Header=BB29_55 Depth=3
	v_add_nc_u32_e32 v14, 1, v15
	s_mov_b32 s36, -1
	s_mov_b32 s35, -1
	s_mov_b32 s34, exec_lo
	s_delay_alu instid0(VALU_DEP_1) | instskip(NEXT) | instid1(VALU_DEP_1)
	v_and_b32_e32 v14, 0x7f, v14
	v_lshl_add_u32 v21, v14, 2, v18
	ds_load_b32 v21, v21
	s_wait_dscnt 0x0
	v_cmpx_ne_u32_e32 -1, v21
	s_cbranch_execz .LBB29_52
; %bb.58:                               ;   in Loop: Header=BB29_55 Depth=3
	s_mov_b32 s37, 0
	s_mov_b32 s35, exec_lo
	v_cmpx_ne_u32_e64 v21, v12
	s_cbranch_execz .LBB29_51
; %bb.59:                               ;   in Loop: Header=BB29_55 Depth=3
	v_add_nc_u32_e32 v14, 2, v15
	s_mov_b32 s38, -1
	s_mov_b32 s37, -1
	s_mov_b32 s36, exec_lo
	s_delay_alu instid0(VALU_DEP_1) | instskip(NEXT) | instid1(VALU_DEP_1)
	v_and_b32_e32 v14, 0x7f, v14
	v_lshl_add_u32 v21, v14, 2, v18
	ds_load_b32 v21, v21
	s_wait_dscnt 0x0
	v_cmpx_ne_u32_e32 -1, v21
	s_cbranch_execz .LBB29_50
; %bb.60:                               ;   in Loop: Header=BB29_55 Depth=3
	s_mov_b32 s39, 0
	s_mov_b32 s37, exec_lo
	v_cmpx_ne_u32_e64 v21, v12
	s_cbranch_execz .LBB29_49
; %bb.61:                               ;   in Loop: Header=BB29_55 Depth=3
	v_add_nc_u32_e32 v14, 3, v15
	s_mov_b32 s40, -1
	s_mov_b32 s39, -1
	s_mov_b32 s38, exec_lo
	s_delay_alu instid0(VALU_DEP_1) | instskip(NEXT) | instid1(VALU_DEP_1)
	v_and_b32_e32 v14, 0x7f, v14
	v_lshl_add_u32 v15, v14, 2, v18
	ds_load_b32 v21, v15
                                        ; implicit-def: $vgpr15
	s_wait_dscnt 0x0
	v_cmpx_ne_u32_e32 -1, v21
	s_cbranch_execz .LBB29_48
; %bb.62:                               ;   in Loop: Header=BB29_55 Depth=3
	s_mov_b32 s39, 0
	s_mov_b32 s41, exec_lo
                                        ; implicit-def: $vgpr15
	v_cmpx_ne_u32_e64 v21, v12
	s_cbranch_execz .LBB29_47
; %bb.63:                               ;   in Loop: Header=BB29_55 Depth=3
	v_add_nc_u32_e32 v13, -4, v13
	v_add_nc_u32_e32 v15, 1, v14
	s_mov_b32 s39, exec_lo
	s_delay_alu instid0(VALU_DEP_2)
	v_cmp_eq_u32_e32 vcc_lo, 0, v13
	s_or_not1_b32 s40, vcc_lo, exec_lo
	s_branch .LBB29_47
.LBB29_64:                              ;   in Loop: Header=BB29_46 Depth=2
	s_or_b32 exec_lo, exec_lo, s25
	s_xor_b32 s25, s26, -1
	s_wait_alu 0xfffe
	s_and_saveexec_b32 s26, s25
	s_delay_alu instid0(SALU_CYCLE_1)
	s_xor_b32 s25, exec_lo, s26
	s_cbranch_execz .LBB29_45
; %bb.65:                               ;   in Loop: Header=BB29_46 Depth=2
	v_lshl_add_u32 v12, v14, 2, v0
	v_lshlrev_b64_e32 v[14:15], 3, v[8:9]
	ds_load_b32 v12, v12
	v_add_co_u32 v14, vcc_lo, s8, v14
	s_wait_alu 0xfffd
	v_add_co_ci_u32_e64 v15, null, s9, v15, vcc_lo
	s_wait_dscnt 0x0
	v_ashrrev_i32_e32 v13, 31, v12
	s_delay_alu instid0(VALU_DEP_1) | instskip(NEXT) | instid1(VALU_DEP_1)
	v_lshlrev_b64_e32 v[12:13], 3, v[12:13]
	v_add_co_u32 v12, vcc_lo, s8, v12
	s_wait_alu 0xfffd
	s_delay_alu instid0(VALU_DEP_2)
	v_add_co_ci_u32_e64 v13, null, s9, v13, vcc_lo
	s_clause 0x1
	global_load_b64 v[14:15], v[14:15], off
	global_load_b64 v[21:22], v[12:13], off
	s_wait_loadcnt 0x0
	v_fma_f32 v21, -v10, v14, v21
	v_fma_f32 v9, -v11, v14, v22
	s_delay_alu instid0(VALU_DEP_2) | instskip(NEXT) | instid1(VALU_DEP_2)
	v_fmac_f32_e32 v21, v11, v15
	v_fma_f32 v22, -v10, v15, v9
	global_store_b64 v[12:13], v[21:22], off
	s_branch .LBB29_45
.LBB29_66:
	s_or_b32 exec_lo, exec_lo, s14
	s_delay_alu instid0(SALU_CYCLE_1)
	s_mov_b32 s4, exec_lo
	s_wait_loadcnt 0x0
	s_wait_storecnt 0x0
	global_inv scope:SCOPE_SE
	v_cmpx_lt_i32_e32 -1, v6
	s_cbranch_execz .LBB29_88
; %bb.67:
	v_mov_b32_e32 v7, 0
	s_mov_b32 s2, exec_lo
	s_delay_alu instid0(VALU_DEP_1) | instskip(NEXT) | instid1(VALU_DEP_1)
	v_lshlrev_b64_e32 v[8:9], 3, v[6:7]
	v_add_co_u32 v10, vcc_lo, s8, v8
	s_wait_alu 0xfffd
	s_delay_alu instid0(VALU_DEP_2)
	v_add_co_ci_u32_e64 v11, null, s9, v9, vcc_lo
	global_load_b64 v[8:9], v[10:11], off
	s_wait_loadcnt 0x0
	v_cmp_gt_f32_e32 vcc_lo, 0, v8
	s_wait_alu 0xfffd
	v_cndmask_b32_e64 v0, v8, -v8, vcc_lo
	v_cmp_gt_f32_e32 vcc_lo, 0, v9
	s_wait_alu 0xfffd
	v_cndmask_b32_e64 v6, v9, -v9, vcc_lo
	s_delay_alu instid0(VALU_DEP_1)
	v_cmpx_ngt_f32_e32 v0, v6
	s_wait_alu 0xfffe
	s_xor_b32 s5, exec_lo, s2
	s_cbranch_execz .LBB29_71
; %bb.68:
	s_mov_b32 s6, exec_lo
	v_cmpx_neq_f32_e32 0, v9
	s_cbranch_execz .LBB29_70
; %bb.69:
	v_div_scale_f32 v7, null, v6, v6, v0
	v_div_scale_f32 v14, vcc_lo, v0, v6, v0
	s_delay_alu instid0(VALU_DEP_2) | instskip(NEXT) | instid1(TRANS32_DEP_1)
	v_rcp_f32_e32 v12, v7
	v_fma_f32 v13, -v7, v12, 1.0
	s_delay_alu instid0(VALU_DEP_1) | instskip(NEXT) | instid1(VALU_DEP_1)
	v_fmac_f32_e32 v12, v13, v12
	v_mul_f32_e32 v13, v14, v12
	s_delay_alu instid0(VALU_DEP_1) | instskip(NEXT) | instid1(VALU_DEP_1)
	v_fma_f32 v15, -v7, v13, v14
	v_fmac_f32_e32 v13, v15, v12
	s_delay_alu instid0(VALU_DEP_1) | instskip(SKIP_1) | instid1(VALU_DEP_1)
	v_fma_f32 v7, -v7, v13, v14
	s_wait_alu 0xfffd
	v_div_fmas_f32 v7, v7, v12, v13
	s_delay_alu instid0(VALU_DEP_1) | instskip(NEXT) | instid1(VALU_DEP_1)
	v_div_fixup_f32 v0, v7, v6, v0
	v_fma_f32 v0, v0, v0, 1.0
	s_delay_alu instid0(VALU_DEP_1) | instskip(SKIP_2) | instid1(VALU_DEP_2)
	v_mul_f32_e32 v7, 0x4f800000, v0
	v_cmp_gt_f32_e32 vcc_lo, 0xf800000, v0
	s_wait_alu 0xfffd
	v_cndmask_b32_e32 v0, v0, v7, vcc_lo
	s_delay_alu instid0(VALU_DEP_1) | instskip(NEXT) | instid1(TRANS32_DEP_1)
	v_sqrt_f32_e32 v7, v0
	v_add_nc_u32_e32 v12, -1, v7
	v_add_nc_u32_e32 v13, 1, v7
	s_delay_alu instid0(VALU_DEP_2) | instskip(NEXT) | instid1(VALU_DEP_2)
	v_fma_f32 v14, -v12, v7, v0
	v_fma_f32 v15, -v13, v7, v0
	s_delay_alu instid0(VALU_DEP_2) | instskip(SKIP_1) | instid1(VALU_DEP_1)
	v_cmp_ge_f32_e64 s2, 0, v14
	s_wait_alu 0xf1ff
	v_cndmask_b32_e64 v7, v7, v12, s2
	s_delay_alu instid0(VALU_DEP_3) | instskip(SKIP_1) | instid1(VALU_DEP_1)
	v_cmp_lt_f32_e64 s2, 0, v15
	s_wait_alu 0xf1ff
	v_cndmask_b32_e64 v7, v7, v13, s2
	s_delay_alu instid0(VALU_DEP_1) | instskip(NEXT) | instid1(VALU_DEP_1)
	v_mul_f32_e32 v12, 0x37800000, v7
	v_cndmask_b32_e32 v7, v7, v12, vcc_lo
	v_cmp_class_f32_e64 vcc_lo, v0, 0x260
	s_wait_alu 0xfffd
	s_delay_alu instid0(VALU_DEP_2) | instskip(NEXT) | instid1(VALU_DEP_1)
	v_cndmask_b32_e32 v0, v7, v0, vcc_lo
	v_mul_f32_e32 v7, v6, v0
.LBB29_70:
	s_wait_alu 0xfffe
	s_or_b32 exec_lo, exec_lo, s6
                                        ; implicit-def: $vgpr0
                                        ; implicit-def: $vgpr6
.LBB29_71:
	s_wait_alu 0xfffe
	s_and_not1_saveexec_b32 s5, s5
	s_cbranch_execz .LBB29_73
; %bb.72:
	v_div_scale_f32 v7, null, v0, v0, v6
	v_div_scale_f32 v14, vcc_lo, v6, v0, v6
	s_delay_alu instid0(VALU_DEP_2) | instskip(NEXT) | instid1(TRANS32_DEP_1)
	v_rcp_f32_e32 v12, v7
	v_fma_f32 v13, -v7, v12, 1.0
	s_delay_alu instid0(VALU_DEP_1) | instskip(NEXT) | instid1(VALU_DEP_1)
	v_fmac_f32_e32 v12, v13, v12
	v_mul_f32_e32 v13, v14, v12
	s_delay_alu instid0(VALU_DEP_1) | instskip(NEXT) | instid1(VALU_DEP_1)
	v_fma_f32 v15, -v7, v13, v14
	v_fmac_f32_e32 v13, v15, v12
	s_delay_alu instid0(VALU_DEP_1) | instskip(SKIP_1) | instid1(VALU_DEP_1)
	v_fma_f32 v7, -v7, v13, v14
	s_wait_alu 0xfffd
	v_div_fmas_f32 v7, v7, v12, v13
	s_delay_alu instid0(VALU_DEP_1) | instskip(NEXT) | instid1(VALU_DEP_1)
	v_div_fixup_f32 v6, v7, v0, v6
	v_fma_f32 v6, v6, v6, 1.0
	s_delay_alu instid0(VALU_DEP_1) | instskip(SKIP_2) | instid1(VALU_DEP_2)
	v_mul_f32_e32 v7, 0x4f800000, v6
	v_cmp_gt_f32_e32 vcc_lo, 0xf800000, v6
	s_wait_alu 0xfffd
	v_cndmask_b32_e32 v6, v6, v7, vcc_lo
	s_delay_alu instid0(VALU_DEP_1) | instskip(NEXT) | instid1(TRANS32_DEP_1)
	v_sqrt_f32_e32 v7, v6
	v_add_nc_u32_e32 v12, -1, v7
	v_add_nc_u32_e32 v13, 1, v7
	s_delay_alu instid0(VALU_DEP_2) | instskip(NEXT) | instid1(VALU_DEP_2)
	v_fma_f32 v14, -v12, v7, v6
	v_fma_f32 v15, -v13, v7, v6
	s_delay_alu instid0(VALU_DEP_2) | instskip(SKIP_1) | instid1(VALU_DEP_1)
	v_cmp_ge_f32_e64 s2, 0, v14
	s_wait_alu 0xf1ff
	v_cndmask_b32_e64 v7, v7, v12, s2
	s_delay_alu instid0(VALU_DEP_3) | instskip(SKIP_1) | instid1(VALU_DEP_1)
	v_cmp_lt_f32_e64 s2, 0, v15
	s_wait_alu 0xf1ff
	v_cndmask_b32_e64 v7, v7, v13, s2
	s_delay_alu instid0(VALU_DEP_1) | instskip(NEXT) | instid1(VALU_DEP_1)
	v_mul_f32_e32 v12, 0x37800000, v7
	v_cndmask_b32_e32 v7, v7, v12, vcc_lo
	v_cmp_class_f32_e64 vcc_lo, v6, 0x260
	s_wait_alu 0xfffd
	s_delay_alu instid0(VALU_DEP_2) | instskip(NEXT) | instid1(VALU_DEP_1)
	v_cndmask_b32_e32 v6, v7, v6, vcc_lo
	v_mul_f32_e32 v7, v0, v6
.LBB29_73:
	s_wait_alu 0xfffe
	s_or_b32 exec_lo, exec_lo, s5
	s_delay_alu instid0(VALU_DEP_1)
	v_cvt_f64_f32_e32 v[6:7], v7
	v_cmp_ne_u32_e32 vcc_lo, 1, v17
	v_cmp_eq_u32_e64 s2, 0, v16
	s_mov_b32 s5, -1
	s_cbranch_vccnz .LBB29_77
; %bb.74:
	v_cvt_f64_f32_e32 v[12:13], s29
	s_cmp_eq_u64 s[20:21], 8
	s_cselect_b32 vcc_lo, -1, 0
	s_wait_alu 0xfffe
	s_delay_alu instid0(VALU_DEP_1) | instskip(NEXT) | instid1(VALU_DEP_1)
	v_dual_cndmask_b32 v4, v13, v4 :: v_dual_cndmask_b32 v3, v12, v3
	v_cmp_ge_f64_e32 vcc_lo, v[3:4], v[6:7]
	s_and_b32 s6, s2, vcc_lo
	s_wait_alu 0xfffe
	s_and_saveexec_b32 s5, s6
	s_cbranch_execz .LBB29_76
; %bb.75:
	v_dual_mov_b32 v3, s3 :: v_dual_mov_b32 v4, s22
	global_store_b64 v[10:11], v[3:4], off
	s_wait_storecnt 0x0
	global_inv scope:SCOPE_DEV
.LBB29_76:
	s_wait_alu 0xfffe
	s_or_b32 exec_lo, exec_lo, s5
	s_mov_b32 s5, 0
.LBB29_77:
	s_wait_alu 0xfffe
	s_and_not1_b32 vcc_lo, exec_lo, s5
	s_wait_alu 0xfffe
	s_cbranch_vccnz .LBB29_88
; %bb.78:
	s_load_b64 s[0:1], s[0:1], 0x48
	v_add_nc_u32_e32 v0, s28, v5
	s_wait_kmcnt 0x0
	v_cmp_ge_f64_e32 vcc_lo, s[0:1], v[6:7]
	s_and_b32 s1, s2, vcc_lo
	s_wait_alu 0xfffe
	s_and_saveexec_b32 s0, s1
	s_cbranch_execz .LBB29_83
; %bb.79:
	s_mov_b32 s3, exec_lo
	s_brev_b32 s1, -2
.LBB29_80:                              ; =>This Inner Loop Header: Depth=1
	s_wait_alu 0xfffe
	s_ctz_i32_b32 s5, s3
	s_wait_alu 0xfffe
	v_readlane_b32 s6, v0, s5
	s_lshl_b32 s5, 1, s5
	s_wait_alu 0xfffe
	s_and_not1_b32 s3, s3, s5
	s_min_i32 s1, s1, s6
	s_wait_alu 0xfffe
	s_cmp_lg_u32 s3, 0
	s_cbranch_scc1 .LBB29_80
; %bb.81:
	v_mbcnt_lo_u32_b32 v3, exec_lo, 0
	s_mov_b32 s3, exec_lo
	s_delay_alu instid0(VALU_DEP_1)
	v_cmpx_eq_u32_e32 0, v3
	s_wait_alu 0xfffe
	s_xor_b32 s3, exec_lo, s3
	s_cbranch_execz .LBB29_83
; %bb.82:
	v_dual_mov_b32 v3, 0 :: v_dual_mov_b32 v4, s1
	global_atomic_min_i32 v3, v4, s[18:19] scope:SCOPE_DEV
.LBB29_83:
	s_wait_alu 0xfffe
	s_or_b32 exec_lo, exec_lo, s0
	v_cmp_eq_f32_e32 vcc_lo, 0, v8
	v_cmp_eq_f32_e64 s0, 0, v9
	s_and_b32 s0, vcc_lo, s0
	s_wait_alu 0xfffe
	s_and_b32 s0, s2, s0
	s_wait_alu 0xfffe
	s_and_b32 exec_lo, exec_lo, s0
	s_cbranch_execz .LBB29_88
; %bb.84:
	s_mov_b32 s1, exec_lo
	s_brev_b32 s0, -2
.LBB29_85:                              ; =>This Inner Loop Header: Depth=1
	s_wait_alu 0xfffe
	s_ctz_i32_b32 s2, s1
	s_wait_alu 0xfffe
	v_readlane_b32 s3, v0, s2
	s_lshl_b32 s2, 1, s2
	s_wait_alu 0xfffe
	s_and_not1_b32 s1, s1, s2
	s_min_i32 s0, s0, s3
	s_wait_alu 0xfffe
	s_cmp_lg_u32 s1, 0
	s_cbranch_scc1 .LBB29_85
; %bb.86:
	v_mbcnt_lo_u32_b32 v0, exec_lo, 0
	s_mov_b32 s1, exec_lo
	s_delay_alu instid0(VALU_DEP_1)
	v_cmpx_eq_u32_e32 0, v0
	s_wait_alu 0xfffe
	s_xor_b32 s1, exec_lo, s1
	s_cbranch_execz .LBB29_88
; %bb.87:
	v_dual_mov_b32 v0, 0 :: v_dual_mov_b32 v3, s0
	global_atomic_min_i32 v0, v3, s[16:17] scope:SCOPE_DEV
.LBB29_88:
	s_wait_alu 0xfffe
	s_or_b32 exec_lo, exec_lo, s4
	v_cmp_eq_u32_e32 vcc_lo, 0, v16
	s_wait_loadcnt 0x0
	s_wait_storecnt 0x0
	global_inv scope:SCOPE_DEV
	s_and_b32 exec_lo, exec_lo, vcc_lo
	s_cbranch_execz .LBB29_90
; %bb.89:
	v_add_co_u32 v0, vcc_lo, s12, v1
	s_wait_alu 0xfffd
	v_add_co_ci_u32_e64 v1, null, s13, v2, vcc_lo
	v_mov_b32_e32 v2, 1
	s_wait_loadcnt 0x0
	global_store_b32 v[0:1], v2, off scope:SCOPE_DEV
.LBB29_90:
	s_endpgm
	.section	.rodata,"a",@progbits
	.p2align	6, 0x0
	.amdhsa_kernel _ZN9rocsparseL12csrilu0_hashILj256ELj32ELj4E21rocsparse_complex_numIfEEEviPKiS4_PT2_S4_PiS4_S7_S7_d21rocsparse_index_base_imNS_24const_host_device_scalarIfEENS9_IdEENS9_IS5_EEb
		.amdhsa_group_segment_fixed_size 8192
		.amdhsa_private_segment_fixed_size 0
		.amdhsa_kernarg_size 124
		.amdhsa_user_sgpr_count 2
		.amdhsa_user_sgpr_dispatch_ptr 0
		.amdhsa_user_sgpr_queue_ptr 0
		.amdhsa_user_sgpr_kernarg_segment_ptr 1
		.amdhsa_user_sgpr_dispatch_id 0
		.amdhsa_user_sgpr_private_segment_size 0
		.amdhsa_wavefront_size32 1
		.amdhsa_uses_dynamic_stack 0
		.amdhsa_enable_private_segment 0
		.amdhsa_system_sgpr_workgroup_id_x 1
		.amdhsa_system_sgpr_workgroup_id_y 0
		.amdhsa_system_sgpr_workgroup_id_z 0
		.amdhsa_system_sgpr_workgroup_info 0
		.amdhsa_system_vgpr_workitem_id 0
		.amdhsa_next_free_vgpr 26
		.amdhsa_next_free_sgpr 42
		.amdhsa_reserve_vcc 1
		.amdhsa_float_round_mode_32 0
		.amdhsa_float_round_mode_16_64 0
		.amdhsa_float_denorm_mode_32 3
		.amdhsa_float_denorm_mode_16_64 3
		.amdhsa_fp16_overflow 0
		.amdhsa_workgroup_processor_mode 1
		.amdhsa_memory_ordered 1
		.amdhsa_forward_progress 1
		.amdhsa_inst_pref_size 32
		.amdhsa_round_robin_scheduling 0
		.amdhsa_exception_fp_ieee_invalid_op 0
		.amdhsa_exception_fp_denorm_src 0
		.amdhsa_exception_fp_ieee_div_zero 0
		.amdhsa_exception_fp_ieee_overflow 0
		.amdhsa_exception_fp_ieee_underflow 0
		.amdhsa_exception_fp_ieee_inexact 0
		.amdhsa_exception_int_div_zero 0
	.end_amdhsa_kernel
	.section	.text._ZN9rocsparseL12csrilu0_hashILj256ELj32ELj4E21rocsparse_complex_numIfEEEviPKiS4_PT2_S4_PiS4_S7_S7_d21rocsparse_index_base_imNS_24const_host_device_scalarIfEENS9_IdEENS9_IS5_EEb,"axG",@progbits,_ZN9rocsparseL12csrilu0_hashILj256ELj32ELj4E21rocsparse_complex_numIfEEEviPKiS4_PT2_S4_PiS4_S7_S7_d21rocsparse_index_base_imNS_24const_host_device_scalarIfEENS9_IdEENS9_IS5_EEb,comdat
.Lfunc_end29:
	.size	_ZN9rocsparseL12csrilu0_hashILj256ELj32ELj4E21rocsparse_complex_numIfEEEviPKiS4_PT2_S4_PiS4_S7_S7_d21rocsparse_index_base_imNS_24const_host_device_scalarIfEENS9_IdEENS9_IS5_EEb, .Lfunc_end29-_ZN9rocsparseL12csrilu0_hashILj256ELj32ELj4E21rocsparse_complex_numIfEEEviPKiS4_PT2_S4_PiS4_S7_S7_d21rocsparse_index_base_imNS_24const_host_device_scalarIfEENS9_IdEENS9_IS5_EEb
                                        ; -- End function
	.set _ZN9rocsparseL12csrilu0_hashILj256ELj32ELj4E21rocsparse_complex_numIfEEEviPKiS4_PT2_S4_PiS4_S7_S7_d21rocsparse_index_base_imNS_24const_host_device_scalarIfEENS9_IdEENS9_IS5_EEb.num_vgpr, 26
	.set _ZN9rocsparseL12csrilu0_hashILj256ELj32ELj4E21rocsparse_complex_numIfEEEviPKiS4_PT2_S4_PiS4_S7_S7_d21rocsparse_index_base_imNS_24const_host_device_scalarIfEENS9_IdEENS9_IS5_EEb.num_agpr, 0
	.set _ZN9rocsparseL12csrilu0_hashILj256ELj32ELj4E21rocsparse_complex_numIfEEEviPKiS4_PT2_S4_PiS4_S7_S7_d21rocsparse_index_base_imNS_24const_host_device_scalarIfEENS9_IdEENS9_IS5_EEb.numbered_sgpr, 42
	.set _ZN9rocsparseL12csrilu0_hashILj256ELj32ELj4E21rocsparse_complex_numIfEEEviPKiS4_PT2_S4_PiS4_S7_S7_d21rocsparse_index_base_imNS_24const_host_device_scalarIfEENS9_IdEENS9_IS5_EEb.num_named_barrier, 0
	.set _ZN9rocsparseL12csrilu0_hashILj256ELj32ELj4E21rocsparse_complex_numIfEEEviPKiS4_PT2_S4_PiS4_S7_S7_d21rocsparse_index_base_imNS_24const_host_device_scalarIfEENS9_IdEENS9_IS5_EEb.private_seg_size, 0
	.set _ZN9rocsparseL12csrilu0_hashILj256ELj32ELj4E21rocsparse_complex_numIfEEEviPKiS4_PT2_S4_PiS4_S7_S7_d21rocsparse_index_base_imNS_24const_host_device_scalarIfEENS9_IdEENS9_IS5_EEb.uses_vcc, 1
	.set _ZN9rocsparseL12csrilu0_hashILj256ELj32ELj4E21rocsparse_complex_numIfEEEviPKiS4_PT2_S4_PiS4_S7_S7_d21rocsparse_index_base_imNS_24const_host_device_scalarIfEENS9_IdEENS9_IS5_EEb.uses_flat_scratch, 0
	.set _ZN9rocsparseL12csrilu0_hashILj256ELj32ELj4E21rocsparse_complex_numIfEEEviPKiS4_PT2_S4_PiS4_S7_S7_d21rocsparse_index_base_imNS_24const_host_device_scalarIfEENS9_IdEENS9_IS5_EEb.has_dyn_sized_stack, 0
	.set _ZN9rocsparseL12csrilu0_hashILj256ELj32ELj4E21rocsparse_complex_numIfEEEviPKiS4_PT2_S4_PiS4_S7_S7_d21rocsparse_index_base_imNS_24const_host_device_scalarIfEENS9_IdEENS9_IS5_EEb.has_recursion, 0
	.set _ZN9rocsparseL12csrilu0_hashILj256ELj32ELj4E21rocsparse_complex_numIfEEEviPKiS4_PT2_S4_PiS4_S7_S7_d21rocsparse_index_base_imNS_24const_host_device_scalarIfEENS9_IdEENS9_IS5_EEb.has_indirect_call, 0
	.section	.AMDGPU.csdata,"",@progbits
; Kernel info:
; codeLenInByte = 3972
; TotalNumSgprs: 44
; NumVgprs: 26
; ScratchSize: 0
; MemoryBound: 0
; FloatMode: 240
; IeeeMode: 1
; LDSByteSize: 8192 bytes/workgroup (compile time only)
; SGPRBlocks: 0
; VGPRBlocks: 3
; NumSGPRsForWavesPerEU: 44
; NumVGPRsForWavesPerEU: 26
; Occupancy: 16
; WaveLimiterHint : 1
; COMPUTE_PGM_RSRC2:SCRATCH_EN: 0
; COMPUTE_PGM_RSRC2:USER_SGPR: 2
; COMPUTE_PGM_RSRC2:TRAP_HANDLER: 0
; COMPUTE_PGM_RSRC2:TGID_X_EN: 1
; COMPUTE_PGM_RSRC2:TGID_Y_EN: 0
; COMPUTE_PGM_RSRC2:TGID_Z_EN: 0
; COMPUTE_PGM_RSRC2:TIDIG_COMP_CNT: 0
	.section	.text._ZN9rocsparseL12csrilu0_hashILj256ELj32ELj8E21rocsparse_complex_numIfEEEviPKiS4_PT2_S4_PiS4_S7_S7_d21rocsparse_index_base_imNS_24const_host_device_scalarIfEENS9_IdEENS9_IS5_EEb,"axG",@progbits,_ZN9rocsparseL12csrilu0_hashILj256ELj32ELj8E21rocsparse_complex_numIfEEEviPKiS4_PT2_S4_PiS4_S7_S7_d21rocsparse_index_base_imNS_24const_host_device_scalarIfEENS9_IdEENS9_IS5_EEb,comdat
	.globl	_ZN9rocsparseL12csrilu0_hashILj256ELj32ELj8E21rocsparse_complex_numIfEEEviPKiS4_PT2_S4_PiS4_S7_S7_d21rocsparse_index_base_imNS_24const_host_device_scalarIfEENS9_IdEENS9_IS5_EEb ; -- Begin function _ZN9rocsparseL12csrilu0_hashILj256ELj32ELj8E21rocsparse_complex_numIfEEEviPKiS4_PT2_S4_PiS4_S7_S7_d21rocsparse_index_base_imNS_24const_host_device_scalarIfEENS9_IdEENS9_IS5_EEb
	.p2align	8
	.type	_ZN9rocsparseL12csrilu0_hashILj256ELj32ELj8E21rocsparse_complex_numIfEEEviPKiS4_PT2_S4_PiS4_S7_S7_d21rocsparse_index_base_imNS_24const_host_device_scalarIfEENS9_IdEENS9_IS5_EEb,@function
_ZN9rocsparseL12csrilu0_hashILj256ELj32ELj8E21rocsparse_complex_numIfEEEviPKiS4_PT2_S4_PiS4_S7_S7_d21rocsparse_index_base_imNS_24const_host_device_scalarIfEENS9_IdEENS9_IS5_EEb: ; @_ZN9rocsparseL12csrilu0_hashILj256ELj32ELj8E21rocsparse_complex_numIfEEEviPKiS4_PT2_S4_PiS4_S7_S7_d21rocsparse_index_base_imNS_24const_host_device_scalarIfEENS9_IdEENS9_IS5_EEb
; %bb.0:
	s_clause 0x2
	s_load_b32 s2, s[0:1], 0x78
	s_load_b64 s[28:29], s[0:1], 0x50
	s_load_b256 s[20:27], s[0:1], 0x58
	s_wait_kmcnt 0x0
	s_bitcmp1_b32 s2, 0
	s_cselect_b32 s4, -1, 0
	s_cmp_eq_u32 s29, 0
	s_cselect_b32 s2, -1, 0
	s_cmp_lg_u32 s29, 0
	s_cselect_b32 s5, -1, 0
	s_or_b32 s7, s2, s4
	s_delay_alu instid0(SALU_CYCLE_1)
	s_xor_b32 s6, s7, -1
	s_and_b32 s2, s2, exec_lo
	s_cselect_b32 s3, 0, s25
	s_cselect_b32 s2, 0, s24
	;; [unrolled: 1-line block ×3, first 2 shown]
	s_and_b32 vcc_lo, exec_lo, s7
	s_cbranch_vccnz .LBB30_2
; %bb.1:
	s_load_b32 s29, s[22:23], 0x0
	s_mov_b64 s[2:3], s[24:25]
.LBB30_2:
	s_delay_alu instid0(SALU_CYCLE_1)
	v_dual_mov_b32 v4, s3 :: v_dual_mov_b32 v3, s2
	s_and_not1_b32 vcc_lo, exec_lo, s6
	s_cbranch_vccnz .LBB30_4
; %bb.3:
	v_dual_mov_b32 v1, s24 :: v_dual_mov_b32 v2, s25
	flat_load_b64 v[3:4], v[1:2]
.LBB30_4:
	v_cndmask_b32_e64 v17, 0, 1, s5
	s_mov_b32 s3, 0
	s_and_not1_b32 vcc_lo, exec_lo, s5
	s_mov_b32 s22, 0
	s_cbranch_vccnz .LBB30_10
; %bb.5:
	s_xor_b32 s2, s4, -1
	s_mov_b32 s3, s26
	s_wait_alu 0xfffe
	v_cndmask_b32_e64 v1, 0, 1, s2
	s_and_not1_b32 vcc_lo, exec_lo, s2
	s_cbranch_vccnz .LBB30_7
; %bb.6:
	s_load_b32 s3, s[26:27], 0x0
.LBB30_7:
	s_delay_alu instid0(VALU_DEP_1)
	v_cmp_ne_u32_e32 vcc_lo, 1, v1
	s_cbranch_vccnz .LBB30_9
; %bb.8:
	s_load_b32 s27, s[26:27], 0x4
.LBB30_9:
	s_wait_kmcnt 0x0
	s_mov_b32 s22, s27
.LBB30_10:
	v_lshrrev_b32_e32 v1, 5, v0
	v_and_b32_e32 v16, 31, v0
	s_mov_b32 s2, 0
	s_delay_alu instid0(VALU_DEP_2) | instskip(NEXT) | instid1(VALU_DEP_2)
	v_lshlrev_b32_e32 v5, 10, v1
	v_lshlrev_b32_e32 v6, 2, v16
	v_or_b32_e32 v2, 0xffffffe0, v16
	s_delay_alu instid0(VALU_DEP_2)
	v_or3_b32 v5, v5, v6, 0x2000
	v_mov_b32_e32 v6, -1
.LBB30_11:                              ; =>This Inner Loop Header: Depth=1
	s_delay_alu instid0(VALU_DEP_3)
	v_add_nc_u32_e32 v2, 32, v2
	ds_store_b32 v5, v6
	v_add_nc_u32_e32 v5, 0x80, v5
	v_cmp_lt_u32_e32 vcc_lo, 0xdf, v2
	s_wait_alu 0xfffe
	s_or_b32 s2, vcc_lo, s2
	s_wait_alu 0xfffe
	s_and_not1_b32 exec_lo, exec_lo, s2
	s_cbranch_execnz .LBB30_11
; %bb.12:
	s_or_b32 exec_lo, exec_lo, s2
	s_load_b32 s2, s[0:1], 0x0
	s_lshl_b32 s4, ttmp9, 3
	s_wait_loadcnt_dscnt 0x0
	global_inv scope:SCOPE_SE
	s_wait_alu 0xfffe
	v_and_or_b32 v1, 0x7fffff8, s4, v1
	s_wait_kmcnt 0x0
	s_delay_alu instid0(VALU_DEP_1)
	v_cmp_gt_i32_e32 vcc_lo, s2, v1
	s_and_saveexec_b32 s2, vcc_lo
	s_cbranch_execz .LBB30_90
; %bb.13:
	s_load_b512 s[4:19], s[0:1], 0x8
	v_lshlrev_b32_e32 v1, 2, v1
	v_lshlrev_b32_e32 v0, 5, v0
	s_mov_b32 s2, exec_lo
	s_delay_alu instid0(VALU_DEP_1) | instskip(NEXT) | instid1(VALU_DEP_1)
	v_and_b32_e32 v0, 0x1c00, v0
	v_or_b32_e32 v18, 0x2000, v0
	s_wait_kmcnt 0x0
	global_load_b32 v5, v1, s[14:15]
	s_wait_loadcnt 0x0
	v_ashrrev_i32_e32 v6, 31, v5
	s_delay_alu instid0(VALU_DEP_1) | instskip(NEXT) | instid1(VALU_DEP_1)
	v_lshlrev_b64_e32 v[1:2], 2, v[5:6]
	v_add_co_u32 v6, vcc_lo, s4, v1
	s_delay_alu instid0(VALU_DEP_1)
	v_add_co_ci_u32_e64 v7, null, s5, v2, vcc_lo
	v_add_co_u32 v9, vcc_lo, s10, v1
	s_wait_alu 0xfffd
	v_add_co_ci_u32_e64 v10, null, s11, v2, vcc_lo
	global_load_b64 v[7:8], v[6:7], off
	global_load_b32 v6, v[9:10], off
	s_wait_loadcnt 0x1
	v_subrev_nc_u32_e32 v7, s28, v7
	v_subrev_nc_u32_e32 v10, s28, v8
	s_delay_alu instid0(VALU_DEP_2) | instskip(NEXT) | instid1(VALU_DEP_1)
	v_add_nc_u32_e32 v8, v7, v16
	v_cmpx_lt_i32_e64 v8, v10
	s_cbranch_execz .LBB30_36
; %bb.14:
	v_mov_b32_e32 v11, -1
	s_mov_b32 s14, 0
	s_branch .LBB30_16
.LBB30_15:                              ;   in Loop: Header=BB30_16 Depth=1
	s_or_b32 exec_lo, exec_lo, s15
	v_add_nc_u32_e32 v8, 32, v8
	s_delay_alu instid0(VALU_DEP_1) | instskip(SKIP_1) | instid1(SALU_CYCLE_1)
	v_cmp_ge_i32_e32 vcc_lo, v8, v10
	s_or_b32 s14, vcc_lo, s14
	s_and_not1_b32 exec_lo, exec_lo, s14
	s_cbranch_execz .LBB30_36
.LBB30_16:                              ; =>This Loop Header: Depth=1
                                        ;     Child Loop BB30_25 Depth 2
	v_ashrrev_i32_e32 v9, 31, v8
	s_mov_b32 s15, 0
                                        ; implicit-def: $sgpr23
                                        ; implicit-def: $sgpr24
                                        ; implicit-def: $sgpr25
	s_delay_alu instid0(VALU_DEP_1) | instskip(NEXT) | instid1(VALU_DEP_1)
	v_lshlrev_b64_e32 v[12:13], 2, v[8:9]
	v_add_co_u32 v12, vcc_lo, s6, v12
	s_wait_alu 0xfffd
	s_delay_alu instid0(VALU_DEP_2)
	v_add_co_ci_u32_e64 v13, null, s7, v13, vcc_lo
	global_load_b32 v9, v[12:13], off
	v_mov_b32_e32 v12, 0x100
	s_wait_loadcnt 0x0
	v_mul_lo_u32 v14, 0x67, v9
	s_branch .LBB30_25
.LBB30_17:                              ;   in Loop: Header=BB30_25 Depth=2
	s_or_b32 exec_lo, exec_lo, s38
	s_delay_alu instid0(SALU_CYCLE_1)
	s_or_not1_b32 s36, s36, exec_lo
	s_or_not1_b32 s37, s37, exec_lo
.LBB30_18:                              ;   in Loop: Header=BB30_25 Depth=2
	s_or_b32 exec_lo, exec_lo, s35
	s_delay_alu instid0(SALU_CYCLE_1)
	s_and_b32 s36, s36, exec_lo
	s_or_not1_b32 s35, s37, exec_lo
.LBB30_19:                              ;   in Loop: Header=BB30_25 Depth=2
	s_or_b32 exec_lo, exec_lo, s34
	s_delay_alu instid0(SALU_CYCLE_1)
	s_or_not1_b32 s34, s36, exec_lo
	s_or_not1_b32 s35, s35, exec_lo
.LBB30_20:                              ;   in Loop: Header=BB30_25 Depth=2
	s_or_b32 exec_lo, exec_lo, s33
	s_delay_alu instid0(SALU_CYCLE_1)
	s_and_b32 s34, s34, exec_lo
	s_or_not1_b32 s33, s35, exec_lo
.LBB30_21:                              ;   in Loop: Header=BB30_25 Depth=2
	s_or_b32 exec_lo, exec_lo, s31
	s_delay_alu instid0(SALU_CYCLE_1)
	s_or_not1_b32 s31, s34, exec_lo
	s_or_not1_b32 s33, s33, exec_lo
.LBB30_22:                              ;   in Loop: Header=BB30_25 Depth=2
	s_or_b32 exec_lo, exec_lo, s30
	s_delay_alu instid0(SALU_CYCLE_1)
	s_and_b32 s31, s31, exec_lo
	s_or_not1_b32 s30, s33, exec_lo
.LBB30_23:                              ;   in Loop: Header=BB30_25 Depth=2
	s_or_b32 exec_lo, exec_lo, s27
	s_wait_alu 0xfffe
	s_and_not1_b32 s25, s25, exec_lo
	s_and_b32 s27, s31, exec_lo
	s_and_not1_b32 s24, s24, exec_lo
	s_and_b32 s30, s30, exec_lo
	s_wait_alu 0xfffe
	s_or_b32 s25, s25, s27
	s_or_b32 s24, s24, s30
.LBB30_24:                              ;   in Loop: Header=BB30_25 Depth=2
	s_or_b32 exec_lo, exec_lo, s26
	s_wait_alu 0xfffe
	s_and_b32 s26, exec_lo, s24
	s_delay_alu instid0(SALU_CYCLE_1) | instskip(SKIP_2) | instid1(SALU_CYCLE_1)
	s_or_b32 s15, s26, s15
	s_and_not1_b32 s23, s23, exec_lo
	s_and_b32 s26, s25, exec_lo
	s_or_b32 s23, s23, s26
	s_and_not1_b32 exec_lo, exec_lo, s15
	s_cbranch_execz .LBB30_34
.LBB30_25:                              ;   Parent Loop BB30_16 Depth=1
                                        ; =>  This Inner Loop Header: Depth=2
	s_delay_alu instid0(VALU_DEP_1) | instskip(SKIP_3) | instid1(VALU_DEP_1)
	v_and_b32_e32 v13, 0xff, v14
	s_or_b32 s25, s25, exec_lo
	s_or_b32 s24, s24, exec_lo
	s_mov_b32 s26, exec_lo
	v_lshl_add_u32 v15, v13, 2, v18
	ds_load_b32 v19, v15
	s_wait_dscnt 0x0
	v_cmpx_ne_u32_e64 v19, v9
	s_cbranch_execz .LBB30_24
; %bb.26:                               ;   in Loop: Header=BB30_25 Depth=2
	ds_cmpstore_rtn_b32 v15, v15, v9, v11
	s_mov_b32 s30, -1
	s_mov_b32 s31, 0
	s_mov_b32 s27, exec_lo
	s_wait_dscnt 0x0
	v_cmpx_ne_u32_e32 -1, v15
	s_cbranch_execz .LBB30_23
; %bb.27:                               ;   in Loop: Header=BB30_25 Depth=2
	v_add_nc_u32_e32 v13, 1, v14
	s_mov_b32 s33, -1
	s_mov_b32 s31, -1
	s_mov_b32 s30, exec_lo
	s_delay_alu instid0(VALU_DEP_1) | instskip(NEXT) | instid1(VALU_DEP_1)
	v_and_b32_e32 v13, 0xff, v13
	v_lshl_add_u32 v15, v13, 2, v18
	ds_load_b32 v19, v15
	s_wait_dscnt 0x0
	v_cmpx_ne_u32_e64 v19, v9
	s_cbranch_execz .LBB30_22
; %bb.28:                               ;   in Loop: Header=BB30_25 Depth=2
	ds_cmpstore_rtn_b32 v15, v15, v9, v11
	s_mov_b32 s34, 0
	s_mov_b32 s31, exec_lo
	s_wait_dscnt 0x0
	v_cmpx_ne_u32_e32 -1, v15
	s_cbranch_execz .LBB30_21
; %bb.29:                               ;   in Loop: Header=BB30_25 Depth=2
	v_add_nc_u32_e32 v13, 2, v14
	s_mov_b32 s35, -1
	s_mov_b32 s34, -1
	s_mov_b32 s33, exec_lo
	s_delay_alu instid0(VALU_DEP_1) | instskip(NEXT) | instid1(VALU_DEP_1)
	v_and_b32_e32 v13, 0xff, v13
	v_lshl_add_u32 v15, v13, 2, v18
	ds_load_b32 v19, v15
	s_wait_dscnt 0x0
	v_cmpx_ne_u32_e64 v19, v9
	s_cbranch_execz .LBB30_20
; %bb.30:                               ;   in Loop: Header=BB30_25 Depth=2
	ds_cmpstore_rtn_b32 v15, v15, v9, v11
	s_mov_b32 s36, 0
	s_mov_b32 s34, exec_lo
	s_wait_dscnt 0x0
	v_cmpx_ne_u32_e32 -1, v15
	s_cbranch_execz .LBB30_19
; %bb.31:                               ;   in Loop: Header=BB30_25 Depth=2
	v_add_nc_u32_e32 v13, 3, v14
	s_mov_b32 s37, -1
	s_mov_b32 s36, -1
	s_delay_alu instid0(VALU_DEP_1) | instskip(NEXT) | instid1(VALU_DEP_1)
	v_and_b32_e32 v13, 0xff, v13
	v_lshl_add_u32 v15, v13, 2, v18
	ds_load_b32 v14, v15
	s_wait_dscnt 0x0
	v_cmp_ne_u32_e32 vcc_lo, v14, v9
                                        ; implicit-def: $vgpr14
	s_and_saveexec_b32 s35, vcc_lo
	s_cbranch_execz .LBB30_18
; %bb.32:                               ;   in Loop: Header=BB30_25 Depth=2
	ds_cmpstore_rtn_b32 v14, v15, v9, v11
	s_mov_b32 s36, 0
	s_wait_dscnt 0x0
	v_cmp_ne_u32_e32 vcc_lo, -1, v14
                                        ; implicit-def: $vgpr14
	s_and_saveexec_b32 s38, vcc_lo
	s_cbranch_execz .LBB30_17
; %bb.33:                               ;   in Loop: Header=BB30_25 Depth=2
	v_add_nc_u32_e32 v12, -4, v12
	v_add_nc_u32_e32 v14, 1, v13
	s_mov_b32 s36, exec_lo
	s_delay_alu instid0(VALU_DEP_2)
	v_cmp_eq_u32_e32 vcc_lo, 0, v12
	s_or_not1_b32 s37, vcc_lo, exec_lo
	s_branch .LBB30_17
.LBB30_34:                              ;   in Loop: Header=BB30_16 Depth=1
	s_or_b32 exec_lo, exec_lo, s15
	s_xor_b32 s15, s23, -1
	s_delay_alu instid0(SALU_CYCLE_1) | instskip(NEXT) | instid1(SALU_CYCLE_1)
	s_and_saveexec_b32 s23, s15
	s_xor_b32 s15, exec_lo, s23
	s_cbranch_execz .LBB30_15
; %bb.35:                               ;   in Loop: Header=BB30_16 Depth=1
	v_lshl_add_u32 v9, v13, 2, v0
	ds_store_b32 v9, v8
	s_branch .LBB30_15
.LBB30_36:
	s_wait_alu 0xfffe
	s_or_b32 exec_lo, exec_lo, s2
	s_delay_alu instid0(SALU_CYCLE_1)
	s_mov_b32 s14, exec_lo
	s_wait_loadcnt_dscnt 0x0
	global_inv scope:SCOPE_SE
	v_cmpx_lt_i32_e64 v7, v6
	s_cbranch_execz .LBB30_66
; %bb.37:
	v_add_nc_u32_e32 v19, 1, v16
	s_mov_b32 s15, 0
	s_branch .LBB30_40
.LBB30_38:                              ;   in Loop: Header=BB30_40 Depth=1
	s_or_b32 exec_lo, exec_lo, s23
	v_add_nc_u32_e32 v7, 1, v7
	s_delay_alu instid0(VALU_DEP_1)
	v_cmp_ge_i32_e32 vcc_lo, v7, v6
	s_or_not1_b32 s23, vcc_lo, exec_lo
.LBB30_39:                              ;   in Loop: Header=BB30_40 Depth=1
	s_wait_alu 0xfffe
	s_or_b32 exec_lo, exec_lo, s2
	s_delay_alu instid0(SALU_CYCLE_1) | instskip(SKIP_2) | instid1(SALU_CYCLE_1)
	s_and_b32 s2, exec_lo, s23
	s_wait_alu 0xfffe
	s_or_b32 s15, s2, s15
	s_and_not1_b32 exec_lo, exec_lo, s15
	s_cbranch_execz .LBB30_66
.LBB30_40:                              ; =>This Loop Header: Depth=1
                                        ;     Child Loop BB30_41 Depth 2
                                        ;     Child Loop BB30_46 Depth 2
                                        ;       Child Loop BB30_55 Depth 3
	v_ashrrev_i32_e32 v8, 31, v7
	s_mov_b32 s2, 0
	s_delay_alu instid0(VALU_DEP_1) | instskip(SKIP_1) | instid1(VALU_DEP_2)
	v_lshlrev_b64_e32 v[9:10], 2, v[7:8]
	v_lshlrev_b64_e32 v[12:13], 3, v[7:8]
	v_add_co_u32 v9, vcc_lo, s6, v9
	s_wait_alu 0xfffd
	s_delay_alu instid0(VALU_DEP_3) | instskip(NEXT) | instid1(VALU_DEP_3)
	v_add_co_ci_u32_e64 v10, null, s7, v10, vcc_lo
	v_add_co_u32 v12, vcc_lo, s8, v12
	s_wait_alu 0xfffd
	v_add_co_ci_u32_e64 v13, null, s9, v13, vcc_lo
	global_load_b32 v9, v[9:10], off
	s_wait_loadcnt 0x0
	v_subrev_nc_u32_e32 v9, s28, v9
	s_delay_alu instid0(VALU_DEP_1) | instskip(NEXT) | instid1(VALU_DEP_1)
	v_ashrrev_i32_e32 v10, 31, v9
	v_lshlrev_b64_e32 v[10:11], 2, v[9:10]
	s_delay_alu instid0(VALU_DEP_1) | instskip(SKIP_1) | instid1(VALU_DEP_2)
	v_add_co_u32 v14, vcc_lo, s4, v10
	s_wait_alu 0xfffd
	v_add_co_ci_u32_e64 v15, null, s5, v11, vcc_lo
	v_add_co_u32 v20, vcc_lo, s10, v10
	s_wait_alu 0xfffd
	v_add_co_ci_u32_e64 v21, null, s11, v11, vcc_lo
	global_load_b64 v[8:9], v[12:13], off
	global_load_b32 v14, v[14:15], off offset:4
	global_load_b32 v15, v[20:21], off
	v_add_co_u32 v10, vcc_lo, s12, v10
	s_wait_alu 0xfffd
	v_add_co_ci_u32_e64 v11, null, s13, v11, vcc_lo
.LBB30_41:                              ;   Parent Loop BB30_40 Depth=1
                                        ; =>  This Inner Loop Header: Depth=2
	global_load_b32 v20, v[10:11], off scope:SCOPE_DEV
	s_wait_loadcnt 0x0
	v_cmp_ne_u32_e32 vcc_lo, 0, v20
	s_wait_alu 0xfffe
	s_or_b32 s2, vcc_lo, s2
	s_wait_alu 0xfffe
	s_and_not1_b32 exec_lo, exec_lo, s2
	s_cbranch_execnz .LBB30_41
; %bb.42:                               ;   in Loop: Header=BB30_40 Depth=1
	s_or_b32 exec_lo, exec_lo, s2
	v_subrev_nc_u32_e32 v20, s28, v14
	v_cmp_eq_u32_e32 vcc_lo, -1, v15
	global_inv scope:SCOPE_DEV
	s_mov_b32 s23, -1
	v_add_nc_u32_e32 v10, -1, v20
	s_wait_alu 0xfffd
	s_delay_alu instid0(VALU_DEP_1) | instskip(NEXT) | instid1(VALU_DEP_1)
	v_cndmask_b32_e32 v10, v15, v10, vcc_lo
	v_ashrrev_i32_e32 v11, 31, v10
	s_delay_alu instid0(VALU_DEP_1) | instskip(NEXT) | instid1(VALU_DEP_1)
	v_lshlrev_b64_e32 v[14:15], 3, v[10:11]
	v_add_co_u32 v14, vcc_lo, s8, v14
	s_wait_alu 0xfffd
	s_delay_alu instid0(VALU_DEP_2)
	v_add_co_ci_u32_e64 v15, null, s9, v15, vcc_lo
	global_load_b64 v[14:15], v[14:15], off
	s_wait_loadcnt 0x0
	v_cmp_neq_f32_e32 vcc_lo, 0, v14
	v_cmp_neq_f32_e64 s2, 0, v15
	s_or_b32 s24, vcc_lo, s2
	s_wait_alu 0xfffe
	s_and_saveexec_b32 s2, s24
	s_cbranch_execz .LBB30_39
; %bb.43:                               ;   in Loop: Header=BB30_40 Depth=1
	v_mul_f32_e32 v11, v15, v15
	s_mov_b32 s23, exec_lo
	s_delay_alu instid0(VALU_DEP_1) | instskip(NEXT) | instid1(VALU_DEP_1)
	v_fmac_f32_e32 v11, v14, v14
	v_div_scale_f32 v21, null, v11, v11, 1.0
	v_div_scale_f32 v24, vcc_lo, 1.0, v11, 1.0
	s_delay_alu instid0(VALU_DEP_2) | instskip(NEXT) | instid1(TRANS32_DEP_1)
	v_rcp_f32_e32 v22, v21
	v_fma_f32 v23, -v21, v22, 1.0
	s_delay_alu instid0(VALU_DEP_1) | instskip(NEXT) | instid1(VALU_DEP_1)
	v_fmac_f32_e32 v22, v23, v22
	v_mul_f32_e32 v23, v24, v22
	s_delay_alu instid0(VALU_DEP_1) | instskip(NEXT) | instid1(VALU_DEP_1)
	v_fma_f32 v25, -v21, v23, v24
	v_fmac_f32_e32 v23, v25, v22
	s_delay_alu instid0(VALU_DEP_1) | instskip(SKIP_3) | instid1(VALU_DEP_3)
	v_fma_f32 v21, -v21, v23, v24
	v_mul_f32_e32 v24, v9, v15
	v_mul_f32_e64 v15, v15, -v8
	s_wait_alu 0xfffd
	v_div_fmas_f32 v21, v21, v22, v23
	s_delay_alu instid0(VALU_DEP_3) | instskip(NEXT) | instid1(VALU_DEP_3)
	v_fmac_f32_e32 v24, v8, v14
	v_fmac_f32_e32 v15, v9, v14
	v_add_nc_u32_e32 v8, v19, v10
	s_delay_alu instid0(VALU_DEP_4) | instskip(NEXT) | instid1(VALU_DEP_1)
	v_div_fixup_f32 v11, v21, v11, 1.0
	v_mul_f32_e32 v10, v24, v11
	s_delay_alu instid0(VALU_DEP_4)
	v_mul_f32_e32 v11, v15, v11
	global_store_b64 v[12:13], v[10:11], off
	v_cmpx_lt_i32_e64 v8, v20
	s_cbranch_execz .LBB30_38
; %bb.44:                               ;   in Loop: Header=BB30_40 Depth=1
	s_mov_b32 s24, 0
	s_branch .LBB30_46
.LBB30_45:                              ;   in Loop: Header=BB30_46 Depth=2
	s_wait_alu 0xfffe
	s_or_b32 exec_lo, exec_lo, s25
	v_add_nc_u32_e32 v8, 32, v8
	s_delay_alu instid0(VALU_DEP_1)
	v_cmp_ge_i32_e32 vcc_lo, v8, v20
	s_or_b32 s24, vcc_lo, s24
	s_wait_alu 0xfffe
	s_and_not1_b32 exec_lo, exec_lo, s24
	s_cbranch_execz .LBB30_38
.LBB30_46:                              ;   Parent Loop BB30_40 Depth=1
                                        ; =>  This Loop Header: Depth=2
                                        ;       Child Loop BB30_55 Depth 3
	v_ashrrev_i32_e32 v9, 31, v8
	s_mov_b32 s25, 0
                                        ; implicit-def: $sgpr26
                                        ; implicit-def: $sgpr27
                                        ; implicit-def: $sgpr30
	s_delay_alu instid0(VALU_DEP_1) | instskip(NEXT) | instid1(VALU_DEP_1)
	v_lshlrev_b64_e32 v[12:13], 2, v[8:9]
	v_add_co_u32 v12, vcc_lo, s6, v12
	s_wait_alu 0xfffd
	s_delay_alu instid0(VALU_DEP_2)
	v_add_co_ci_u32_e64 v13, null, s7, v13, vcc_lo
	global_load_b32 v12, v[12:13], off
	v_mov_b32_e32 v13, 0x100
	s_wait_loadcnt 0x0
	v_mul_lo_u32 v15, 0x67, v12
	s_branch .LBB30_55
.LBB30_47:                              ;   in Loop: Header=BB30_55 Depth=3
	s_or_b32 exec_lo, exec_lo, s41
	s_delay_alu instid0(SALU_CYCLE_1)
	s_or_not1_b32 s39, s39, exec_lo
	s_or_not1_b32 s40, s40, exec_lo
.LBB30_48:                              ;   in Loop: Header=BB30_55 Depth=3
	s_or_b32 exec_lo, exec_lo, s38
	s_delay_alu instid0(SALU_CYCLE_1)
	s_and_b32 s39, s39, exec_lo
	s_or_not1_b32 s38, s40, exec_lo
.LBB30_49:                              ;   in Loop: Header=BB30_55 Depth=3
	s_or_b32 exec_lo, exec_lo, s37
	s_delay_alu instid0(SALU_CYCLE_1)
	s_or_not1_b32 s37, s39, exec_lo
	s_or_not1_b32 s38, s38, exec_lo
.LBB30_50:                              ;   in Loop: Header=BB30_55 Depth=3
	s_or_b32 exec_lo, exec_lo, s36
	s_delay_alu instid0(SALU_CYCLE_1)
	s_and_b32 s37, s37, exec_lo
	s_or_not1_b32 s36, s38, exec_lo
.LBB30_51:                              ;   in Loop: Header=BB30_55 Depth=3
	s_or_b32 exec_lo, exec_lo, s35
	s_delay_alu instid0(SALU_CYCLE_1)
	s_or_not1_b32 s35, s37, exec_lo
	s_or_not1_b32 s36, s36, exec_lo
.LBB30_52:                              ;   in Loop: Header=BB30_55 Depth=3
	s_or_b32 exec_lo, exec_lo, s34
	s_delay_alu instid0(SALU_CYCLE_1)
	s_and_b32 s35, s35, exec_lo
	s_or_not1_b32 s34, s36, exec_lo
.LBB30_53:                              ;   in Loop: Header=BB30_55 Depth=3
	s_or_b32 exec_lo, exec_lo, s33
	s_delay_alu instid0(SALU_CYCLE_1)
	s_and_not1_b32 s30, s30, exec_lo
	s_and_b32 s33, s35, exec_lo
	s_and_not1_b32 s27, s27, exec_lo
	s_and_b32 s34, s34, exec_lo
	s_or_b32 s30, s30, s33
	s_or_b32 s27, s27, s34
.LBB30_54:                              ;   in Loop: Header=BB30_55 Depth=3
	s_or_b32 exec_lo, exec_lo, s31
	s_delay_alu instid0(SALU_CYCLE_1) | instskip(SKIP_4) | instid1(SALU_CYCLE_1)
	s_and_b32 s31, exec_lo, s27
	s_wait_alu 0xfffe
	s_or_b32 s25, s31, s25
	s_and_not1_b32 s26, s26, exec_lo
	s_and_b32 s31, s30, exec_lo
	s_or_b32 s26, s26, s31
	s_wait_alu 0xfffe
	s_and_not1_b32 exec_lo, exec_lo, s25
	s_cbranch_execz .LBB30_64
.LBB30_55:                              ;   Parent Loop BB30_40 Depth=1
                                        ;     Parent Loop BB30_46 Depth=2
                                        ; =>    This Inner Loop Header: Depth=3
	s_delay_alu instid0(VALU_DEP_1) | instskip(SKIP_3) | instid1(VALU_DEP_1)
	v_and_b32_e32 v14, 0xff, v15
	s_or_b32 s30, s30, exec_lo
	s_or_b32 s27, s27, exec_lo
	s_mov_b32 s31, exec_lo
	v_lshl_add_u32 v21, v14, 2, v18
	ds_load_b32 v21, v21
	s_wait_dscnt 0x0
	v_cmpx_ne_u32_e32 -1, v21
	s_cbranch_execz .LBB30_54
; %bb.56:                               ;   in Loop: Header=BB30_55 Depth=3
	s_mov_b32 s34, -1
	s_mov_b32 s35, 0
	s_mov_b32 s33, exec_lo
	v_cmpx_ne_u32_e64 v21, v12
	s_cbranch_execz .LBB30_53
; %bb.57:                               ;   in Loop: Header=BB30_55 Depth=3
	v_add_nc_u32_e32 v14, 1, v15
	s_mov_b32 s36, -1
	s_mov_b32 s35, -1
	s_mov_b32 s34, exec_lo
	s_delay_alu instid0(VALU_DEP_1) | instskip(NEXT) | instid1(VALU_DEP_1)
	v_and_b32_e32 v14, 0xff, v14
	v_lshl_add_u32 v21, v14, 2, v18
	ds_load_b32 v21, v21
	s_wait_dscnt 0x0
	v_cmpx_ne_u32_e32 -1, v21
	s_cbranch_execz .LBB30_52
; %bb.58:                               ;   in Loop: Header=BB30_55 Depth=3
	s_mov_b32 s37, 0
	s_mov_b32 s35, exec_lo
	v_cmpx_ne_u32_e64 v21, v12
	s_cbranch_execz .LBB30_51
; %bb.59:                               ;   in Loop: Header=BB30_55 Depth=3
	v_add_nc_u32_e32 v14, 2, v15
	s_mov_b32 s38, -1
	s_mov_b32 s37, -1
	s_mov_b32 s36, exec_lo
	s_delay_alu instid0(VALU_DEP_1) | instskip(NEXT) | instid1(VALU_DEP_1)
	v_and_b32_e32 v14, 0xff, v14
	v_lshl_add_u32 v21, v14, 2, v18
	ds_load_b32 v21, v21
	s_wait_dscnt 0x0
	v_cmpx_ne_u32_e32 -1, v21
	s_cbranch_execz .LBB30_50
; %bb.60:                               ;   in Loop: Header=BB30_55 Depth=3
	s_mov_b32 s39, 0
	s_mov_b32 s37, exec_lo
	v_cmpx_ne_u32_e64 v21, v12
	s_cbranch_execz .LBB30_49
; %bb.61:                               ;   in Loop: Header=BB30_55 Depth=3
	v_add_nc_u32_e32 v14, 3, v15
	s_mov_b32 s40, -1
	s_mov_b32 s39, -1
	s_mov_b32 s38, exec_lo
	s_delay_alu instid0(VALU_DEP_1) | instskip(NEXT) | instid1(VALU_DEP_1)
	v_and_b32_e32 v14, 0xff, v14
	v_lshl_add_u32 v15, v14, 2, v18
	ds_load_b32 v21, v15
                                        ; implicit-def: $vgpr15
	s_wait_dscnt 0x0
	v_cmpx_ne_u32_e32 -1, v21
	s_cbranch_execz .LBB30_48
; %bb.62:                               ;   in Loop: Header=BB30_55 Depth=3
	s_mov_b32 s39, 0
	s_mov_b32 s41, exec_lo
                                        ; implicit-def: $vgpr15
	v_cmpx_ne_u32_e64 v21, v12
	s_cbranch_execz .LBB30_47
; %bb.63:                               ;   in Loop: Header=BB30_55 Depth=3
	v_add_nc_u32_e32 v13, -4, v13
	v_add_nc_u32_e32 v15, 1, v14
	s_mov_b32 s39, exec_lo
	s_delay_alu instid0(VALU_DEP_2)
	v_cmp_eq_u32_e32 vcc_lo, 0, v13
	s_or_not1_b32 s40, vcc_lo, exec_lo
	s_branch .LBB30_47
.LBB30_64:                              ;   in Loop: Header=BB30_46 Depth=2
	s_or_b32 exec_lo, exec_lo, s25
	s_xor_b32 s25, s26, -1
	s_wait_alu 0xfffe
	s_and_saveexec_b32 s26, s25
	s_delay_alu instid0(SALU_CYCLE_1)
	s_xor_b32 s25, exec_lo, s26
	s_cbranch_execz .LBB30_45
; %bb.65:                               ;   in Loop: Header=BB30_46 Depth=2
	v_lshl_add_u32 v12, v14, 2, v0
	v_lshlrev_b64_e32 v[14:15], 3, v[8:9]
	ds_load_b32 v12, v12
	v_add_co_u32 v14, vcc_lo, s8, v14
	s_wait_alu 0xfffd
	v_add_co_ci_u32_e64 v15, null, s9, v15, vcc_lo
	s_wait_dscnt 0x0
	v_ashrrev_i32_e32 v13, 31, v12
	s_delay_alu instid0(VALU_DEP_1) | instskip(NEXT) | instid1(VALU_DEP_1)
	v_lshlrev_b64_e32 v[12:13], 3, v[12:13]
	v_add_co_u32 v12, vcc_lo, s8, v12
	s_wait_alu 0xfffd
	s_delay_alu instid0(VALU_DEP_2)
	v_add_co_ci_u32_e64 v13, null, s9, v13, vcc_lo
	s_clause 0x1
	global_load_b64 v[14:15], v[14:15], off
	global_load_b64 v[21:22], v[12:13], off
	s_wait_loadcnt 0x0
	v_fma_f32 v21, -v10, v14, v21
	v_fma_f32 v9, -v11, v14, v22
	s_delay_alu instid0(VALU_DEP_2) | instskip(NEXT) | instid1(VALU_DEP_2)
	v_fmac_f32_e32 v21, v11, v15
	v_fma_f32 v22, -v10, v15, v9
	global_store_b64 v[12:13], v[21:22], off
	s_branch .LBB30_45
.LBB30_66:
	s_or_b32 exec_lo, exec_lo, s14
	s_delay_alu instid0(SALU_CYCLE_1)
	s_mov_b32 s4, exec_lo
	s_wait_loadcnt 0x0
	s_wait_storecnt 0x0
	global_inv scope:SCOPE_SE
	v_cmpx_lt_i32_e32 -1, v6
	s_cbranch_execz .LBB30_88
; %bb.67:
	v_mov_b32_e32 v7, 0
	s_mov_b32 s2, exec_lo
	s_delay_alu instid0(VALU_DEP_1) | instskip(NEXT) | instid1(VALU_DEP_1)
	v_lshlrev_b64_e32 v[8:9], 3, v[6:7]
	v_add_co_u32 v10, vcc_lo, s8, v8
	s_wait_alu 0xfffd
	s_delay_alu instid0(VALU_DEP_2)
	v_add_co_ci_u32_e64 v11, null, s9, v9, vcc_lo
	global_load_b64 v[8:9], v[10:11], off
	s_wait_loadcnt 0x0
	v_cmp_gt_f32_e32 vcc_lo, 0, v8
	s_wait_alu 0xfffd
	v_cndmask_b32_e64 v0, v8, -v8, vcc_lo
	v_cmp_gt_f32_e32 vcc_lo, 0, v9
	s_wait_alu 0xfffd
	v_cndmask_b32_e64 v6, v9, -v9, vcc_lo
	s_delay_alu instid0(VALU_DEP_1)
	v_cmpx_ngt_f32_e32 v0, v6
	s_wait_alu 0xfffe
	s_xor_b32 s5, exec_lo, s2
	s_cbranch_execz .LBB30_71
; %bb.68:
	s_mov_b32 s6, exec_lo
	v_cmpx_neq_f32_e32 0, v9
	s_cbranch_execz .LBB30_70
; %bb.69:
	v_div_scale_f32 v7, null, v6, v6, v0
	v_div_scale_f32 v14, vcc_lo, v0, v6, v0
	s_delay_alu instid0(VALU_DEP_2) | instskip(NEXT) | instid1(TRANS32_DEP_1)
	v_rcp_f32_e32 v12, v7
	v_fma_f32 v13, -v7, v12, 1.0
	s_delay_alu instid0(VALU_DEP_1) | instskip(NEXT) | instid1(VALU_DEP_1)
	v_fmac_f32_e32 v12, v13, v12
	v_mul_f32_e32 v13, v14, v12
	s_delay_alu instid0(VALU_DEP_1) | instskip(NEXT) | instid1(VALU_DEP_1)
	v_fma_f32 v15, -v7, v13, v14
	v_fmac_f32_e32 v13, v15, v12
	s_delay_alu instid0(VALU_DEP_1) | instskip(SKIP_1) | instid1(VALU_DEP_1)
	v_fma_f32 v7, -v7, v13, v14
	s_wait_alu 0xfffd
	v_div_fmas_f32 v7, v7, v12, v13
	s_delay_alu instid0(VALU_DEP_1) | instskip(NEXT) | instid1(VALU_DEP_1)
	v_div_fixup_f32 v0, v7, v6, v0
	v_fma_f32 v0, v0, v0, 1.0
	s_delay_alu instid0(VALU_DEP_1) | instskip(SKIP_2) | instid1(VALU_DEP_2)
	v_mul_f32_e32 v7, 0x4f800000, v0
	v_cmp_gt_f32_e32 vcc_lo, 0xf800000, v0
	s_wait_alu 0xfffd
	v_cndmask_b32_e32 v0, v0, v7, vcc_lo
	s_delay_alu instid0(VALU_DEP_1) | instskip(NEXT) | instid1(TRANS32_DEP_1)
	v_sqrt_f32_e32 v7, v0
	v_add_nc_u32_e32 v12, -1, v7
	v_add_nc_u32_e32 v13, 1, v7
	s_delay_alu instid0(VALU_DEP_2) | instskip(NEXT) | instid1(VALU_DEP_2)
	v_fma_f32 v14, -v12, v7, v0
	v_fma_f32 v15, -v13, v7, v0
	s_delay_alu instid0(VALU_DEP_2) | instskip(SKIP_1) | instid1(VALU_DEP_1)
	v_cmp_ge_f32_e64 s2, 0, v14
	s_wait_alu 0xf1ff
	v_cndmask_b32_e64 v7, v7, v12, s2
	s_delay_alu instid0(VALU_DEP_3) | instskip(SKIP_1) | instid1(VALU_DEP_1)
	v_cmp_lt_f32_e64 s2, 0, v15
	s_wait_alu 0xf1ff
	v_cndmask_b32_e64 v7, v7, v13, s2
	s_delay_alu instid0(VALU_DEP_1) | instskip(NEXT) | instid1(VALU_DEP_1)
	v_mul_f32_e32 v12, 0x37800000, v7
	v_cndmask_b32_e32 v7, v7, v12, vcc_lo
	v_cmp_class_f32_e64 vcc_lo, v0, 0x260
	s_wait_alu 0xfffd
	s_delay_alu instid0(VALU_DEP_2) | instskip(NEXT) | instid1(VALU_DEP_1)
	v_cndmask_b32_e32 v0, v7, v0, vcc_lo
	v_mul_f32_e32 v7, v6, v0
.LBB30_70:
	s_wait_alu 0xfffe
	s_or_b32 exec_lo, exec_lo, s6
                                        ; implicit-def: $vgpr0
                                        ; implicit-def: $vgpr6
.LBB30_71:
	s_wait_alu 0xfffe
	s_and_not1_saveexec_b32 s5, s5
	s_cbranch_execz .LBB30_73
; %bb.72:
	v_div_scale_f32 v7, null, v0, v0, v6
	v_div_scale_f32 v14, vcc_lo, v6, v0, v6
	s_delay_alu instid0(VALU_DEP_2) | instskip(NEXT) | instid1(TRANS32_DEP_1)
	v_rcp_f32_e32 v12, v7
	v_fma_f32 v13, -v7, v12, 1.0
	s_delay_alu instid0(VALU_DEP_1) | instskip(NEXT) | instid1(VALU_DEP_1)
	v_fmac_f32_e32 v12, v13, v12
	v_mul_f32_e32 v13, v14, v12
	s_delay_alu instid0(VALU_DEP_1) | instskip(NEXT) | instid1(VALU_DEP_1)
	v_fma_f32 v15, -v7, v13, v14
	v_fmac_f32_e32 v13, v15, v12
	s_delay_alu instid0(VALU_DEP_1) | instskip(SKIP_1) | instid1(VALU_DEP_1)
	v_fma_f32 v7, -v7, v13, v14
	s_wait_alu 0xfffd
	v_div_fmas_f32 v7, v7, v12, v13
	s_delay_alu instid0(VALU_DEP_1) | instskip(NEXT) | instid1(VALU_DEP_1)
	v_div_fixup_f32 v6, v7, v0, v6
	v_fma_f32 v6, v6, v6, 1.0
	s_delay_alu instid0(VALU_DEP_1) | instskip(SKIP_2) | instid1(VALU_DEP_2)
	v_mul_f32_e32 v7, 0x4f800000, v6
	v_cmp_gt_f32_e32 vcc_lo, 0xf800000, v6
	s_wait_alu 0xfffd
	v_cndmask_b32_e32 v6, v6, v7, vcc_lo
	s_delay_alu instid0(VALU_DEP_1) | instskip(NEXT) | instid1(TRANS32_DEP_1)
	v_sqrt_f32_e32 v7, v6
	v_add_nc_u32_e32 v12, -1, v7
	v_add_nc_u32_e32 v13, 1, v7
	s_delay_alu instid0(VALU_DEP_2) | instskip(NEXT) | instid1(VALU_DEP_2)
	v_fma_f32 v14, -v12, v7, v6
	v_fma_f32 v15, -v13, v7, v6
	s_delay_alu instid0(VALU_DEP_2) | instskip(SKIP_1) | instid1(VALU_DEP_1)
	v_cmp_ge_f32_e64 s2, 0, v14
	s_wait_alu 0xf1ff
	v_cndmask_b32_e64 v7, v7, v12, s2
	s_delay_alu instid0(VALU_DEP_3) | instskip(SKIP_1) | instid1(VALU_DEP_1)
	v_cmp_lt_f32_e64 s2, 0, v15
	s_wait_alu 0xf1ff
	v_cndmask_b32_e64 v7, v7, v13, s2
	s_delay_alu instid0(VALU_DEP_1) | instskip(NEXT) | instid1(VALU_DEP_1)
	v_mul_f32_e32 v12, 0x37800000, v7
	v_cndmask_b32_e32 v7, v7, v12, vcc_lo
	v_cmp_class_f32_e64 vcc_lo, v6, 0x260
	s_wait_alu 0xfffd
	s_delay_alu instid0(VALU_DEP_2) | instskip(NEXT) | instid1(VALU_DEP_1)
	v_cndmask_b32_e32 v6, v7, v6, vcc_lo
	v_mul_f32_e32 v7, v0, v6
.LBB30_73:
	s_wait_alu 0xfffe
	s_or_b32 exec_lo, exec_lo, s5
	s_delay_alu instid0(VALU_DEP_1)
	v_cvt_f64_f32_e32 v[6:7], v7
	v_cmp_ne_u32_e32 vcc_lo, 1, v17
	v_cmp_eq_u32_e64 s2, 0, v16
	s_mov_b32 s5, -1
	s_cbranch_vccnz .LBB30_77
; %bb.74:
	v_cvt_f64_f32_e32 v[12:13], s29
	s_cmp_eq_u64 s[20:21], 8
	s_cselect_b32 vcc_lo, -1, 0
	s_wait_alu 0xfffe
	s_delay_alu instid0(VALU_DEP_1) | instskip(NEXT) | instid1(VALU_DEP_1)
	v_dual_cndmask_b32 v4, v13, v4 :: v_dual_cndmask_b32 v3, v12, v3
	v_cmp_ge_f64_e32 vcc_lo, v[3:4], v[6:7]
	s_and_b32 s6, s2, vcc_lo
	s_wait_alu 0xfffe
	s_and_saveexec_b32 s5, s6
	s_cbranch_execz .LBB30_76
; %bb.75:
	v_dual_mov_b32 v3, s3 :: v_dual_mov_b32 v4, s22
	global_store_b64 v[10:11], v[3:4], off
	s_wait_storecnt 0x0
	global_inv scope:SCOPE_DEV
.LBB30_76:
	s_wait_alu 0xfffe
	s_or_b32 exec_lo, exec_lo, s5
	s_mov_b32 s5, 0
.LBB30_77:
	s_wait_alu 0xfffe
	s_and_not1_b32 vcc_lo, exec_lo, s5
	s_wait_alu 0xfffe
	s_cbranch_vccnz .LBB30_88
; %bb.78:
	s_load_b64 s[0:1], s[0:1], 0x48
	v_add_nc_u32_e32 v0, s28, v5
	s_wait_kmcnt 0x0
	v_cmp_ge_f64_e32 vcc_lo, s[0:1], v[6:7]
	s_and_b32 s1, s2, vcc_lo
	s_wait_alu 0xfffe
	s_and_saveexec_b32 s0, s1
	s_cbranch_execz .LBB30_83
; %bb.79:
	s_mov_b32 s3, exec_lo
	s_brev_b32 s1, -2
.LBB30_80:                              ; =>This Inner Loop Header: Depth=1
	s_wait_alu 0xfffe
	s_ctz_i32_b32 s5, s3
	s_wait_alu 0xfffe
	v_readlane_b32 s6, v0, s5
	s_lshl_b32 s5, 1, s5
	s_wait_alu 0xfffe
	s_and_not1_b32 s3, s3, s5
	s_min_i32 s1, s1, s6
	s_wait_alu 0xfffe
	s_cmp_lg_u32 s3, 0
	s_cbranch_scc1 .LBB30_80
; %bb.81:
	v_mbcnt_lo_u32_b32 v3, exec_lo, 0
	s_mov_b32 s3, exec_lo
	s_delay_alu instid0(VALU_DEP_1)
	v_cmpx_eq_u32_e32 0, v3
	s_wait_alu 0xfffe
	s_xor_b32 s3, exec_lo, s3
	s_cbranch_execz .LBB30_83
; %bb.82:
	v_dual_mov_b32 v3, 0 :: v_dual_mov_b32 v4, s1
	global_atomic_min_i32 v3, v4, s[18:19] scope:SCOPE_DEV
.LBB30_83:
	s_wait_alu 0xfffe
	s_or_b32 exec_lo, exec_lo, s0
	v_cmp_eq_f32_e32 vcc_lo, 0, v8
	v_cmp_eq_f32_e64 s0, 0, v9
	s_and_b32 s0, vcc_lo, s0
	s_wait_alu 0xfffe
	s_and_b32 s0, s2, s0
	s_wait_alu 0xfffe
	s_and_b32 exec_lo, exec_lo, s0
	s_cbranch_execz .LBB30_88
; %bb.84:
	s_mov_b32 s1, exec_lo
	s_brev_b32 s0, -2
.LBB30_85:                              ; =>This Inner Loop Header: Depth=1
	s_wait_alu 0xfffe
	s_ctz_i32_b32 s2, s1
	s_wait_alu 0xfffe
	v_readlane_b32 s3, v0, s2
	s_lshl_b32 s2, 1, s2
	s_wait_alu 0xfffe
	s_and_not1_b32 s1, s1, s2
	s_min_i32 s0, s0, s3
	s_wait_alu 0xfffe
	s_cmp_lg_u32 s1, 0
	s_cbranch_scc1 .LBB30_85
; %bb.86:
	v_mbcnt_lo_u32_b32 v0, exec_lo, 0
	s_mov_b32 s1, exec_lo
	s_delay_alu instid0(VALU_DEP_1)
	v_cmpx_eq_u32_e32 0, v0
	s_wait_alu 0xfffe
	s_xor_b32 s1, exec_lo, s1
	s_cbranch_execz .LBB30_88
; %bb.87:
	v_dual_mov_b32 v0, 0 :: v_dual_mov_b32 v3, s0
	global_atomic_min_i32 v0, v3, s[16:17] scope:SCOPE_DEV
.LBB30_88:
	s_wait_alu 0xfffe
	s_or_b32 exec_lo, exec_lo, s4
	v_cmp_eq_u32_e32 vcc_lo, 0, v16
	s_wait_loadcnt 0x0
	s_wait_storecnt 0x0
	global_inv scope:SCOPE_DEV
	s_and_b32 exec_lo, exec_lo, vcc_lo
	s_cbranch_execz .LBB30_90
; %bb.89:
	v_add_co_u32 v0, vcc_lo, s12, v1
	s_wait_alu 0xfffd
	v_add_co_ci_u32_e64 v1, null, s13, v2, vcc_lo
	v_mov_b32_e32 v2, 1
	s_wait_loadcnt 0x0
	global_store_b32 v[0:1], v2, off scope:SCOPE_DEV
.LBB30_90:
	s_endpgm
	.section	.rodata,"a",@progbits
	.p2align	6, 0x0
	.amdhsa_kernel _ZN9rocsparseL12csrilu0_hashILj256ELj32ELj8E21rocsparse_complex_numIfEEEviPKiS4_PT2_S4_PiS4_S7_S7_d21rocsparse_index_base_imNS_24const_host_device_scalarIfEENS9_IdEENS9_IS5_EEb
		.amdhsa_group_segment_fixed_size 16384
		.amdhsa_private_segment_fixed_size 0
		.amdhsa_kernarg_size 124
		.amdhsa_user_sgpr_count 2
		.amdhsa_user_sgpr_dispatch_ptr 0
		.amdhsa_user_sgpr_queue_ptr 0
		.amdhsa_user_sgpr_kernarg_segment_ptr 1
		.amdhsa_user_sgpr_dispatch_id 0
		.amdhsa_user_sgpr_private_segment_size 0
		.amdhsa_wavefront_size32 1
		.amdhsa_uses_dynamic_stack 0
		.amdhsa_enable_private_segment 0
		.amdhsa_system_sgpr_workgroup_id_x 1
		.amdhsa_system_sgpr_workgroup_id_y 0
		.amdhsa_system_sgpr_workgroup_id_z 0
		.amdhsa_system_sgpr_workgroup_info 0
		.amdhsa_system_vgpr_workitem_id 0
		.amdhsa_next_free_vgpr 26
		.amdhsa_next_free_sgpr 42
		.amdhsa_reserve_vcc 1
		.amdhsa_float_round_mode_32 0
		.amdhsa_float_round_mode_16_64 0
		.amdhsa_float_denorm_mode_32 3
		.amdhsa_float_denorm_mode_16_64 3
		.amdhsa_fp16_overflow 0
		.amdhsa_workgroup_processor_mode 1
		.amdhsa_memory_ordered 1
		.amdhsa_forward_progress 1
		.amdhsa_inst_pref_size 32
		.amdhsa_round_robin_scheduling 0
		.amdhsa_exception_fp_ieee_invalid_op 0
		.amdhsa_exception_fp_denorm_src 0
		.amdhsa_exception_fp_ieee_div_zero 0
		.amdhsa_exception_fp_ieee_overflow 0
		.amdhsa_exception_fp_ieee_underflow 0
		.amdhsa_exception_fp_ieee_inexact 0
		.amdhsa_exception_int_div_zero 0
	.end_amdhsa_kernel
	.section	.text._ZN9rocsparseL12csrilu0_hashILj256ELj32ELj8E21rocsparse_complex_numIfEEEviPKiS4_PT2_S4_PiS4_S7_S7_d21rocsparse_index_base_imNS_24const_host_device_scalarIfEENS9_IdEENS9_IS5_EEb,"axG",@progbits,_ZN9rocsparseL12csrilu0_hashILj256ELj32ELj8E21rocsparse_complex_numIfEEEviPKiS4_PT2_S4_PiS4_S7_S7_d21rocsparse_index_base_imNS_24const_host_device_scalarIfEENS9_IdEENS9_IS5_EEb,comdat
.Lfunc_end30:
	.size	_ZN9rocsparseL12csrilu0_hashILj256ELj32ELj8E21rocsparse_complex_numIfEEEviPKiS4_PT2_S4_PiS4_S7_S7_d21rocsparse_index_base_imNS_24const_host_device_scalarIfEENS9_IdEENS9_IS5_EEb, .Lfunc_end30-_ZN9rocsparseL12csrilu0_hashILj256ELj32ELj8E21rocsparse_complex_numIfEEEviPKiS4_PT2_S4_PiS4_S7_S7_d21rocsparse_index_base_imNS_24const_host_device_scalarIfEENS9_IdEENS9_IS5_EEb
                                        ; -- End function
	.set _ZN9rocsparseL12csrilu0_hashILj256ELj32ELj8E21rocsparse_complex_numIfEEEviPKiS4_PT2_S4_PiS4_S7_S7_d21rocsparse_index_base_imNS_24const_host_device_scalarIfEENS9_IdEENS9_IS5_EEb.num_vgpr, 26
	.set _ZN9rocsparseL12csrilu0_hashILj256ELj32ELj8E21rocsparse_complex_numIfEEEviPKiS4_PT2_S4_PiS4_S7_S7_d21rocsparse_index_base_imNS_24const_host_device_scalarIfEENS9_IdEENS9_IS5_EEb.num_agpr, 0
	.set _ZN9rocsparseL12csrilu0_hashILj256ELj32ELj8E21rocsparse_complex_numIfEEEviPKiS4_PT2_S4_PiS4_S7_S7_d21rocsparse_index_base_imNS_24const_host_device_scalarIfEENS9_IdEENS9_IS5_EEb.numbered_sgpr, 42
	.set _ZN9rocsparseL12csrilu0_hashILj256ELj32ELj8E21rocsparse_complex_numIfEEEviPKiS4_PT2_S4_PiS4_S7_S7_d21rocsparse_index_base_imNS_24const_host_device_scalarIfEENS9_IdEENS9_IS5_EEb.num_named_barrier, 0
	.set _ZN9rocsparseL12csrilu0_hashILj256ELj32ELj8E21rocsparse_complex_numIfEEEviPKiS4_PT2_S4_PiS4_S7_S7_d21rocsparse_index_base_imNS_24const_host_device_scalarIfEENS9_IdEENS9_IS5_EEb.private_seg_size, 0
	.set _ZN9rocsparseL12csrilu0_hashILj256ELj32ELj8E21rocsparse_complex_numIfEEEviPKiS4_PT2_S4_PiS4_S7_S7_d21rocsparse_index_base_imNS_24const_host_device_scalarIfEENS9_IdEENS9_IS5_EEb.uses_vcc, 1
	.set _ZN9rocsparseL12csrilu0_hashILj256ELj32ELj8E21rocsparse_complex_numIfEEEviPKiS4_PT2_S4_PiS4_S7_S7_d21rocsparse_index_base_imNS_24const_host_device_scalarIfEENS9_IdEENS9_IS5_EEb.uses_flat_scratch, 0
	.set _ZN9rocsparseL12csrilu0_hashILj256ELj32ELj8E21rocsparse_complex_numIfEEEviPKiS4_PT2_S4_PiS4_S7_S7_d21rocsparse_index_base_imNS_24const_host_device_scalarIfEENS9_IdEENS9_IS5_EEb.has_dyn_sized_stack, 0
	.set _ZN9rocsparseL12csrilu0_hashILj256ELj32ELj8E21rocsparse_complex_numIfEEEviPKiS4_PT2_S4_PiS4_S7_S7_d21rocsparse_index_base_imNS_24const_host_device_scalarIfEENS9_IdEENS9_IS5_EEb.has_recursion, 0
	.set _ZN9rocsparseL12csrilu0_hashILj256ELj32ELj8E21rocsparse_complex_numIfEEEviPKiS4_PT2_S4_PiS4_S7_S7_d21rocsparse_index_base_imNS_24const_host_device_scalarIfEENS9_IdEENS9_IS5_EEb.has_indirect_call, 0
	.section	.AMDGPU.csdata,"",@progbits
; Kernel info:
; codeLenInByte = 3972
; TotalNumSgprs: 44
; NumVgprs: 26
; ScratchSize: 0
; MemoryBound: 0
; FloatMode: 240
; IeeeMode: 1
; LDSByteSize: 16384 bytes/workgroup (compile time only)
; SGPRBlocks: 0
; VGPRBlocks: 3
; NumSGPRsForWavesPerEU: 44
; NumVGPRsForWavesPerEU: 26
; Occupancy: 16
; WaveLimiterHint : 1
; COMPUTE_PGM_RSRC2:SCRATCH_EN: 0
; COMPUTE_PGM_RSRC2:USER_SGPR: 2
; COMPUTE_PGM_RSRC2:TRAP_HANDLER: 0
; COMPUTE_PGM_RSRC2:TGID_X_EN: 1
; COMPUTE_PGM_RSRC2:TGID_Y_EN: 0
; COMPUTE_PGM_RSRC2:TGID_Z_EN: 0
; COMPUTE_PGM_RSRC2:TIDIG_COMP_CNT: 0
	.section	.text._ZN9rocsparseL12csrilu0_hashILj256ELj32ELj16E21rocsparse_complex_numIfEEEviPKiS4_PT2_S4_PiS4_S7_S7_d21rocsparse_index_base_imNS_24const_host_device_scalarIfEENS9_IdEENS9_IS5_EEb,"axG",@progbits,_ZN9rocsparseL12csrilu0_hashILj256ELj32ELj16E21rocsparse_complex_numIfEEEviPKiS4_PT2_S4_PiS4_S7_S7_d21rocsparse_index_base_imNS_24const_host_device_scalarIfEENS9_IdEENS9_IS5_EEb,comdat
	.globl	_ZN9rocsparseL12csrilu0_hashILj256ELj32ELj16E21rocsparse_complex_numIfEEEviPKiS4_PT2_S4_PiS4_S7_S7_d21rocsparse_index_base_imNS_24const_host_device_scalarIfEENS9_IdEENS9_IS5_EEb ; -- Begin function _ZN9rocsparseL12csrilu0_hashILj256ELj32ELj16E21rocsparse_complex_numIfEEEviPKiS4_PT2_S4_PiS4_S7_S7_d21rocsparse_index_base_imNS_24const_host_device_scalarIfEENS9_IdEENS9_IS5_EEb
	.p2align	8
	.type	_ZN9rocsparseL12csrilu0_hashILj256ELj32ELj16E21rocsparse_complex_numIfEEEviPKiS4_PT2_S4_PiS4_S7_S7_d21rocsparse_index_base_imNS_24const_host_device_scalarIfEENS9_IdEENS9_IS5_EEb,@function
_ZN9rocsparseL12csrilu0_hashILj256ELj32ELj16E21rocsparse_complex_numIfEEEviPKiS4_PT2_S4_PiS4_S7_S7_d21rocsparse_index_base_imNS_24const_host_device_scalarIfEENS9_IdEENS9_IS5_EEb: ; @_ZN9rocsparseL12csrilu0_hashILj256ELj32ELj16E21rocsparse_complex_numIfEEEviPKiS4_PT2_S4_PiS4_S7_S7_d21rocsparse_index_base_imNS_24const_host_device_scalarIfEENS9_IdEENS9_IS5_EEb
; %bb.0:
	s_clause 0x2
	s_load_b32 s2, s[0:1], 0x78
	s_load_b64 s[28:29], s[0:1], 0x50
	s_load_b256 s[20:27], s[0:1], 0x58
	s_wait_kmcnt 0x0
	s_bitcmp1_b32 s2, 0
	s_cselect_b32 s4, -1, 0
	s_cmp_eq_u32 s29, 0
	s_cselect_b32 s2, -1, 0
	s_cmp_lg_u32 s29, 0
	s_cselect_b32 s5, -1, 0
	s_or_b32 s7, s2, s4
	s_delay_alu instid0(SALU_CYCLE_1)
	s_xor_b32 s6, s7, -1
	s_and_b32 s2, s2, exec_lo
	s_cselect_b32 s3, 0, s25
	s_cselect_b32 s2, 0, s24
	;; [unrolled: 1-line block ×3, first 2 shown]
	s_and_b32 vcc_lo, exec_lo, s7
	s_cbranch_vccnz .LBB31_2
; %bb.1:
	s_load_b32 s29, s[22:23], 0x0
	s_mov_b64 s[2:3], s[24:25]
.LBB31_2:
	s_delay_alu instid0(SALU_CYCLE_1)
	v_dual_mov_b32 v4, s3 :: v_dual_mov_b32 v3, s2
	s_and_not1_b32 vcc_lo, exec_lo, s6
	s_cbranch_vccnz .LBB31_4
; %bb.3:
	v_dual_mov_b32 v1, s24 :: v_dual_mov_b32 v2, s25
	flat_load_b64 v[3:4], v[1:2]
.LBB31_4:
	v_cndmask_b32_e64 v17, 0, 1, s5
	s_mov_b32 s3, 0
	s_and_not1_b32 vcc_lo, exec_lo, s5
	s_mov_b32 s22, 0
	s_cbranch_vccnz .LBB31_10
; %bb.5:
	s_xor_b32 s2, s4, -1
	s_mov_b32 s3, s26
	s_wait_alu 0xfffe
	v_cndmask_b32_e64 v1, 0, 1, s2
	s_and_not1_b32 vcc_lo, exec_lo, s2
	s_cbranch_vccnz .LBB31_7
; %bb.6:
	s_load_b32 s3, s[26:27], 0x0
.LBB31_7:
	s_delay_alu instid0(VALU_DEP_1)
	v_cmp_ne_u32_e32 vcc_lo, 1, v1
	s_cbranch_vccnz .LBB31_9
; %bb.8:
	s_load_b32 s27, s[26:27], 0x4
.LBB31_9:
	s_wait_kmcnt 0x0
	s_mov_b32 s22, s27
.LBB31_10:
	v_lshrrev_b32_e32 v1, 5, v0
	v_and_b32_e32 v16, 31, v0
	s_mov_b32 s2, 0
	s_delay_alu instid0(VALU_DEP_2) | instskip(NEXT) | instid1(VALU_DEP_2)
	v_lshlrev_b32_e32 v5, 11, v1
	v_lshlrev_b32_e32 v6, 2, v16
	v_or_b32_e32 v2, 0xffffffe0, v16
	s_delay_alu instid0(VALU_DEP_2)
	v_or3_b32 v5, v5, v6, 0x4000
	v_mov_b32_e32 v6, -1
.LBB31_11:                              ; =>This Inner Loop Header: Depth=1
	s_delay_alu instid0(VALU_DEP_3)
	v_add_nc_u32_e32 v2, 32, v2
	ds_store_b32 v5, v6
	v_add_nc_u32_e32 v5, 0x80, v5
	v_cmp_lt_u32_e32 vcc_lo, 0x1df, v2
	s_wait_alu 0xfffe
	s_or_b32 s2, vcc_lo, s2
	s_wait_alu 0xfffe
	s_and_not1_b32 exec_lo, exec_lo, s2
	s_cbranch_execnz .LBB31_11
; %bb.12:
	s_or_b32 exec_lo, exec_lo, s2
	s_load_b32 s2, s[0:1], 0x0
	s_lshl_b32 s4, ttmp9, 3
	s_wait_loadcnt_dscnt 0x0
	global_inv scope:SCOPE_SE
	s_wait_alu 0xfffe
	v_and_or_b32 v1, 0x7fffff8, s4, v1
	s_wait_kmcnt 0x0
	s_delay_alu instid0(VALU_DEP_1)
	v_cmp_gt_i32_e32 vcc_lo, s2, v1
	s_and_saveexec_b32 s2, vcc_lo
	s_cbranch_execz .LBB31_90
; %bb.13:
	s_load_b512 s[4:19], s[0:1], 0x8
	v_lshlrev_b32_e32 v1, 2, v1
	v_lshlrev_b32_e32 v0, 6, v0
	s_mov_b32 s2, exec_lo
	s_delay_alu instid0(VALU_DEP_1) | instskip(NEXT) | instid1(VALU_DEP_1)
	v_and_b32_e32 v0, 0x3800, v0
	v_or_b32_e32 v18, 0x4000, v0
	s_wait_kmcnt 0x0
	global_load_b32 v5, v1, s[14:15]
	s_wait_loadcnt 0x0
	v_ashrrev_i32_e32 v6, 31, v5
	s_delay_alu instid0(VALU_DEP_1) | instskip(NEXT) | instid1(VALU_DEP_1)
	v_lshlrev_b64_e32 v[1:2], 2, v[5:6]
	v_add_co_u32 v6, vcc_lo, s4, v1
	s_delay_alu instid0(VALU_DEP_1)
	v_add_co_ci_u32_e64 v7, null, s5, v2, vcc_lo
	v_add_co_u32 v9, vcc_lo, s10, v1
	s_wait_alu 0xfffd
	v_add_co_ci_u32_e64 v10, null, s11, v2, vcc_lo
	global_load_b64 v[7:8], v[6:7], off
	global_load_b32 v6, v[9:10], off
	s_wait_loadcnt 0x1
	v_subrev_nc_u32_e32 v7, s28, v7
	v_subrev_nc_u32_e32 v10, s28, v8
	s_delay_alu instid0(VALU_DEP_2) | instskip(NEXT) | instid1(VALU_DEP_1)
	v_add_nc_u32_e32 v8, v7, v16
	v_cmpx_lt_i32_e64 v8, v10
	s_cbranch_execz .LBB31_36
; %bb.14:
	v_mov_b32_e32 v11, -1
	s_mov_b32 s14, 0
	s_branch .LBB31_16
.LBB31_15:                              ;   in Loop: Header=BB31_16 Depth=1
	s_or_b32 exec_lo, exec_lo, s15
	v_add_nc_u32_e32 v8, 32, v8
	s_delay_alu instid0(VALU_DEP_1) | instskip(SKIP_1) | instid1(SALU_CYCLE_1)
	v_cmp_ge_i32_e32 vcc_lo, v8, v10
	s_or_b32 s14, vcc_lo, s14
	s_and_not1_b32 exec_lo, exec_lo, s14
	s_cbranch_execz .LBB31_36
.LBB31_16:                              ; =>This Loop Header: Depth=1
                                        ;     Child Loop BB31_25 Depth 2
	v_ashrrev_i32_e32 v9, 31, v8
	s_mov_b32 s15, 0
                                        ; implicit-def: $sgpr23
                                        ; implicit-def: $sgpr24
                                        ; implicit-def: $sgpr25
	s_delay_alu instid0(VALU_DEP_1) | instskip(NEXT) | instid1(VALU_DEP_1)
	v_lshlrev_b64_e32 v[12:13], 2, v[8:9]
	v_add_co_u32 v12, vcc_lo, s6, v12
	s_wait_alu 0xfffd
	s_delay_alu instid0(VALU_DEP_2)
	v_add_co_ci_u32_e64 v13, null, s7, v13, vcc_lo
	global_load_b32 v9, v[12:13], off
	v_mov_b32_e32 v12, 0x200
	s_wait_loadcnt 0x0
	v_mul_lo_u32 v14, 0x67, v9
	s_branch .LBB31_25
.LBB31_17:                              ;   in Loop: Header=BB31_25 Depth=2
	s_or_b32 exec_lo, exec_lo, s38
	s_delay_alu instid0(SALU_CYCLE_1)
	s_or_not1_b32 s36, s36, exec_lo
	s_or_not1_b32 s37, s37, exec_lo
.LBB31_18:                              ;   in Loop: Header=BB31_25 Depth=2
	s_or_b32 exec_lo, exec_lo, s35
	s_delay_alu instid0(SALU_CYCLE_1)
	s_and_b32 s36, s36, exec_lo
	s_or_not1_b32 s35, s37, exec_lo
.LBB31_19:                              ;   in Loop: Header=BB31_25 Depth=2
	s_or_b32 exec_lo, exec_lo, s34
	s_delay_alu instid0(SALU_CYCLE_1)
	s_or_not1_b32 s34, s36, exec_lo
	s_or_not1_b32 s35, s35, exec_lo
.LBB31_20:                              ;   in Loop: Header=BB31_25 Depth=2
	s_or_b32 exec_lo, exec_lo, s33
	s_delay_alu instid0(SALU_CYCLE_1)
	s_and_b32 s34, s34, exec_lo
	s_or_not1_b32 s33, s35, exec_lo
.LBB31_21:                              ;   in Loop: Header=BB31_25 Depth=2
	s_or_b32 exec_lo, exec_lo, s31
	s_delay_alu instid0(SALU_CYCLE_1)
	s_or_not1_b32 s31, s34, exec_lo
	s_or_not1_b32 s33, s33, exec_lo
.LBB31_22:                              ;   in Loop: Header=BB31_25 Depth=2
	s_or_b32 exec_lo, exec_lo, s30
	s_delay_alu instid0(SALU_CYCLE_1)
	s_and_b32 s31, s31, exec_lo
	s_or_not1_b32 s30, s33, exec_lo
.LBB31_23:                              ;   in Loop: Header=BB31_25 Depth=2
	s_or_b32 exec_lo, exec_lo, s27
	s_wait_alu 0xfffe
	s_and_not1_b32 s25, s25, exec_lo
	s_and_b32 s27, s31, exec_lo
	s_and_not1_b32 s24, s24, exec_lo
	s_and_b32 s30, s30, exec_lo
	s_wait_alu 0xfffe
	s_or_b32 s25, s25, s27
	s_or_b32 s24, s24, s30
.LBB31_24:                              ;   in Loop: Header=BB31_25 Depth=2
	s_or_b32 exec_lo, exec_lo, s26
	s_wait_alu 0xfffe
	s_and_b32 s26, exec_lo, s24
	s_delay_alu instid0(SALU_CYCLE_1) | instskip(SKIP_2) | instid1(SALU_CYCLE_1)
	s_or_b32 s15, s26, s15
	s_and_not1_b32 s23, s23, exec_lo
	s_and_b32 s26, s25, exec_lo
	s_or_b32 s23, s23, s26
	s_and_not1_b32 exec_lo, exec_lo, s15
	s_cbranch_execz .LBB31_34
.LBB31_25:                              ;   Parent Loop BB31_16 Depth=1
                                        ; =>  This Inner Loop Header: Depth=2
	s_delay_alu instid0(VALU_DEP_1) | instskip(SKIP_3) | instid1(VALU_DEP_1)
	v_and_b32_e32 v13, 0x1ff, v14
	s_or_b32 s25, s25, exec_lo
	s_or_b32 s24, s24, exec_lo
	s_mov_b32 s26, exec_lo
	v_lshl_add_u32 v15, v13, 2, v18
	ds_load_b32 v19, v15
	s_wait_dscnt 0x0
	v_cmpx_ne_u32_e64 v19, v9
	s_cbranch_execz .LBB31_24
; %bb.26:                               ;   in Loop: Header=BB31_25 Depth=2
	ds_cmpstore_rtn_b32 v15, v15, v9, v11
	s_mov_b32 s30, -1
	s_mov_b32 s31, 0
	s_mov_b32 s27, exec_lo
	s_wait_dscnt 0x0
	v_cmpx_ne_u32_e32 -1, v15
	s_cbranch_execz .LBB31_23
; %bb.27:                               ;   in Loop: Header=BB31_25 Depth=2
	v_add_nc_u32_e32 v13, 1, v14
	s_mov_b32 s33, -1
	s_mov_b32 s31, -1
	s_mov_b32 s30, exec_lo
	s_delay_alu instid0(VALU_DEP_1) | instskip(NEXT) | instid1(VALU_DEP_1)
	v_and_b32_e32 v13, 0x1ff, v13
	v_lshl_add_u32 v15, v13, 2, v18
	ds_load_b32 v19, v15
	s_wait_dscnt 0x0
	v_cmpx_ne_u32_e64 v19, v9
	s_cbranch_execz .LBB31_22
; %bb.28:                               ;   in Loop: Header=BB31_25 Depth=2
	ds_cmpstore_rtn_b32 v15, v15, v9, v11
	s_mov_b32 s34, 0
	s_mov_b32 s31, exec_lo
	s_wait_dscnt 0x0
	v_cmpx_ne_u32_e32 -1, v15
	s_cbranch_execz .LBB31_21
; %bb.29:                               ;   in Loop: Header=BB31_25 Depth=2
	v_add_nc_u32_e32 v13, 2, v14
	s_mov_b32 s35, -1
	s_mov_b32 s34, -1
	s_mov_b32 s33, exec_lo
	s_delay_alu instid0(VALU_DEP_1) | instskip(NEXT) | instid1(VALU_DEP_1)
	v_and_b32_e32 v13, 0x1ff, v13
	v_lshl_add_u32 v15, v13, 2, v18
	ds_load_b32 v19, v15
	s_wait_dscnt 0x0
	v_cmpx_ne_u32_e64 v19, v9
	s_cbranch_execz .LBB31_20
; %bb.30:                               ;   in Loop: Header=BB31_25 Depth=2
	ds_cmpstore_rtn_b32 v15, v15, v9, v11
	s_mov_b32 s36, 0
	s_mov_b32 s34, exec_lo
	s_wait_dscnt 0x0
	v_cmpx_ne_u32_e32 -1, v15
	s_cbranch_execz .LBB31_19
; %bb.31:                               ;   in Loop: Header=BB31_25 Depth=2
	v_add_nc_u32_e32 v13, 3, v14
	s_mov_b32 s37, -1
	s_mov_b32 s36, -1
	s_delay_alu instid0(VALU_DEP_1) | instskip(NEXT) | instid1(VALU_DEP_1)
	v_and_b32_e32 v13, 0x1ff, v13
	v_lshl_add_u32 v15, v13, 2, v18
	ds_load_b32 v14, v15
	s_wait_dscnt 0x0
	v_cmp_ne_u32_e32 vcc_lo, v14, v9
                                        ; implicit-def: $vgpr14
	s_and_saveexec_b32 s35, vcc_lo
	s_cbranch_execz .LBB31_18
; %bb.32:                               ;   in Loop: Header=BB31_25 Depth=2
	ds_cmpstore_rtn_b32 v14, v15, v9, v11
	s_mov_b32 s36, 0
	s_wait_dscnt 0x0
	v_cmp_ne_u32_e32 vcc_lo, -1, v14
                                        ; implicit-def: $vgpr14
	s_and_saveexec_b32 s38, vcc_lo
	s_cbranch_execz .LBB31_17
; %bb.33:                               ;   in Loop: Header=BB31_25 Depth=2
	v_add_nc_u32_e32 v12, -4, v12
	v_add_nc_u32_e32 v14, 1, v13
	s_mov_b32 s36, exec_lo
	s_delay_alu instid0(VALU_DEP_2)
	v_cmp_eq_u32_e32 vcc_lo, 0, v12
	s_or_not1_b32 s37, vcc_lo, exec_lo
	s_branch .LBB31_17
.LBB31_34:                              ;   in Loop: Header=BB31_16 Depth=1
	s_or_b32 exec_lo, exec_lo, s15
	s_xor_b32 s15, s23, -1
	s_delay_alu instid0(SALU_CYCLE_1) | instskip(NEXT) | instid1(SALU_CYCLE_1)
	s_and_saveexec_b32 s23, s15
	s_xor_b32 s15, exec_lo, s23
	s_cbranch_execz .LBB31_15
; %bb.35:                               ;   in Loop: Header=BB31_16 Depth=1
	v_lshl_add_u32 v9, v13, 2, v0
	ds_store_b32 v9, v8
	s_branch .LBB31_15
.LBB31_36:
	s_wait_alu 0xfffe
	s_or_b32 exec_lo, exec_lo, s2
	s_delay_alu instid0(SALU_CYCLE_1)
	s_mov_b32 s14, exec_lo
	s_wait_loadcnt_dscnt 0x0
	global_inv scope:SCOPE_SE
	v_cmpx_lt_i32_e64 v7, v6
	s_cbranch_execz .LBB31_66
; %bb.37:
	v_add_nc_u32_e32 v19, 1, v16
	s_mov_b32 s15, 0
	s_branch .LBB31_40
.LBB31_38:                              ;   in Loop: Header=BB31_40 Depth=1
	s_or_b32 exec_lo, exec_lo, s23
	v_add_nc_u32_e32 v7, 1, v7
	s_delay_alu instid0(VALU_DEP_1)
	v_cmp_ge_i32_e32 vcc_lo, v7, v6
	s_or_not1_b32 s23, vcc_lo, exec_lo
.LBB31_39:                              ;   in Loop: Header=BB31_40 Depth=1
	s_wait_alu 0xfffe
	s_or_b32 exec_lo, exec_lo, s2
	s_delay_alu instid0(SALU_CYCLE_1) | instskip(SKIP_2) | instid1(SALU_CYCLE_1)
	s_and_b32 s2, exec_lo, s23
	s_wait_alu 0xfffe
	s_or_b32 s15, s2, s15
	s_and_not1_b32 exec_lo, exec_lo, s15
	s_cbranch_execz .LBB31_66
.LBB31_40:                              ; =>This Loop Header: Depth=1
                                        ;     Child Loop BB31_41 Depth 2
                                        ;     Child Loop BB31_46 Depth 2
                                        ;       Child Loop BB31_55 Depth 3
	v_ashrrev_i32_e32 v8, 31, v7
	s_mov_b32 s2, 0
	s_delay_alu instid0(VALU_DEP_1) | instskip(SKIP_1) | instid1(VALU_DEP_2)
	v_lshlrev_b64_e32 v[9:10], 2, v[7:8]
	v_lshlrev_b64_e32 v[12:13], 3, v[7:8]
	v_add_co_u32 v9, vcc_lo, s6, v9
	s_wait_alu 0xfffd
	s_delay_alu instid0(VALU_DEP_3) | instskip(NEXT) | instid1(VALU_DEP_3)
	v_add_co_ci_u32_e64 v10, null, s7, v10, vcc_lo
	v_add_co_u32 v12, vcc_lo, s8, v12
	s_wait_alu 0xfffd
	v_add_co_ci_u32_e64 v13, null, s9, v13, vcc_lo
	global_load_b32 v9, v[9:10], off
	s_wait_loadcnt 0x0
	v_subrev_nc_u32_e32 v9, s28, v9
	s_delay_alu instid0(VALU_DEP_1) | instskip(NEXT) | instid1(VALU_DEP_1)
	v_ashrrev_i32_e32 v10, 31, v9
	v_lshlrev_b64_e32 v[10:11], 2, v[9:10]
	s_delay_alu instid0(VALU_DEP_1) | instskip(SKIP_1) | instid1(VALU_DEP_2)
	v_add_co_u32 v14, vcc_lo, s4, v10
	s_wait_alu 0xfffd
	v_add_co_ci_u32_e64 v15, null, s5, v11, vcc_lo
	v_add_co_u32 v20, vcc_lo, s10, v10
	s_wait_alu 0xfffd
	v_add_co_ci_u32_e64 v21, null, s11, v11, vcc_lo
	global_load_b64 v[8:9], v[12:13], off
	global_load_b32 v14, v[14:15], off offset:4
	global_load_b32 v15, v[20:21], off
	v_add_co_u32 v10, vcc_lo, s12, v10
	s_wait_alu 0xfffd
	v_add_co_ci_u32_e64 v11, null, s13, v11, vcc_lo
.LBB31_41:                              ;   Parent Loop BB31_40 Depth=1
                                        ; =>  This Inner Loop Header: Depth=2
	global_load_b32 v20, v[10:11], off scope:SCOPE_DEV
	s_wait_loadcnt 0x0
	v_cmp_ne_u32_e32 vcc_lo, 0, v20
	s_wait_alu 0xfffe
	s_or_b32 s2, vcc_lo, s2
	s_wait_alu 0xfffe
	s_and_not1_b32 exec_lo, exec_lo, s2
	s_cbranch_execnz .LBB31_41
; %bb.42:                               ;   in Loop: Header=BB31_40 Depth=1
	s_or_b32 exec_lo, exec_lo, s2
	v_subrev_nc_u32_e32 v20, s28, v14
	v_cmp_eq_u32_e32 vcc_lo, -1, v15
	global_inv scope:SCOPE_DEV
	s_mov_b32 s23, -1
	v_add_nc_u32_e32 v10, -1, v20
	s_wait_alu 0xfffd
	s_delay_alu instid0(VALU_DEP_1) | instskip(NEXT) | instid1(VALU_DEP_1)
	v_cndmask_b32_e32 v10, v15, v10, vcc_lo
	v_ashrrev_i32_e32 v11, 31, v10
	s_delay_alu instid0(VALU_DEP_1) | instskip(NEXT) | instid1(VALU_DEP_1)
	v_lshlrev_b64_e32 v[14:15], 3, v[10:11]
	v_add_co_u32 v14, vcc_lo, s8, v14
	s_wait_alu 0xfffd
	s_delay_alu instid0(VALU_DEP_2)
	v_add_co_ci_u32_e64 v15, null, s9, v15, vcc_lo
	global_load_b64 v[14:15], v[14:15], off
	s_wait_loadcnt 0x0
	v_cmp_neq_f32_e32 vcc_lo, 0, v14
	v_cmp_neq_f32_e64 s2, 0, v15
	s_or_b32 s24, vcc_lo, s2
	s_wait_alu 0xfffe
	s_and_saveexec_b32 s2, s24
	s_cbranch_execz .LBB31_39
; %bb.43:                               ;   in Loop: Header=BB31_40 Depth=1
	v_mul_f32_e32 v11, v15, v15
	s_mov_b32 s23, exec_lo
	s_delay_alu instid0(VALU_DEP_1) | instskip(NEXT) | instid1(VALU_DEP_1)
	v_fmac_f32_e32 v11, v14, v14
	v_div_scale_f32 v21, null, v11, v11, 1.0
	v_div_scale_f32 v24, vcc_lo, 1.0, v11, 1.0
	s_delay_alu instid0(VALU_DEP_2) | instskip(NEXT) | instid1(TRANS32_DEP_1)
	v_rcp_f32_e32 v22, v21
	v_fma_f32 v23, -v21, v22, 1.0
	s_delay_alu instid0(VALU_DEP_1) | instskip(NEXT) | instid1(VALU_DEP_1)
	v_fmac_f32_e32 v22, v23, v22
	v_mul_f32_e32 v23, v24, v22
	s_delay_alu instid0(VALU_DEP_1) | instskip(NEXT) | instid1(VALU_DEP_1)
	v_fma_f32 v25, -v21, v23, v24
	v_fmac_f32_e32 v23, v25, v22
	s_delay_alu instid0(VALU_DEP_1) | instskip(SKIP_3) | instid1(VALU_DEP_3)
	v_fma_f32 v21, -v21, v23, v24
	v_mul_f32_e32 v24, v9, v15
	v_mul_f32_e64 v15, v15, -v8
	s_wait_alu 0xfffd
	v_div_fmas_f32 v21, v21, v22, v23
	s_delay_alu instid0(VALU_DEP_3) | instskip(NEXT) | instid1(VALU_DEP_3)
	v_fmac_f32_e32 v24, v8, v14
	v_fmac_f32_e32 v15, v9, v14
	v_add_nc_u32_e32 v8, v19, v10
	s_delay_alu instid0(VALU_DEP_4) | instskip(NEXT) | instid1(VALU_DEP_1)
	v_div_fixup_f32 v11, v21, v11, 1.0
	v_mul_f32_e32 v10, v24, v11
	s_delay_alu instid0(VALU_DEP_4)
	v_mul_f32_e32 v11, v15, v11
	global_store_b64 v[12:13], v[10:11], off
	v_cmpx_lt_i32_e64 v8, v20
	s_cbranch_execz .LBB31_38
; %bb.44:                               ;   in Loop: Header=BB31_40 Depth=1
	s_mov_b32 s24, 0
	s_branch .LBB31_46
.LBB31_45:                              ;   in Loop: Header=BB31_46 Depth=2
	s_wait_alu 0xfffe
	s_or_b32 exec_lo, exec_lo, s25
	v_add_nc_u32_e32 v8, 32, v8
	s_delay_alu instid0(VALU_DEP_1)
	v_cmp_ge_i32_e32 vcc_lo, v8, v20
	s_or_b32 s24, vcc_lo, s24
	s_wait_alu 0xfffe
	s_and_not1_b32 exec_lo, exec_lo, s24
	s_cbranch_execz .LBB31_38
.LBB31_46:                              ;   Parent Loop BB31_40 Depth=1
                                        ; =>  This Loop Header: Depth=2
                                        ;       Child Loop BB31_55 Depth 3
	v_ashrrev_i32_e32 v9, 31, v8
	s_mov_b32 s25, 0
                                        ; implicit-def: $sgpr26
                                        ; implicit-def: $sgpr27
                                        ; implicit-def: $sgpr30
	s_delay_alu instid0(VALU_DEP_1) | instskip(NEXT) | instid1(VALU_DEP_1)
	v_lshlrev_b64_e32 v[12:13], 2, v[8:9]
	v_add_co_u32 v12, vcc_lo, s6, v12
	s_wait_alu 0xfffd
	s_delay_alu instid0(VALU_DEP_2)
	v_add_co_ci_u32_e64 v13, null, s7, v13, vcc_lo
	global_load_b32 v12, v[12:13], off
	v_mov_b32_e32 v13, 0x200
	s_wait_loadcnt 0x0
	v_mul_lo_u32 v15, 0x67, v12
	s_branch .LBB31_55
.LBB31_47:                              ;   in Loop: Header=BB31_55 Depth=3
	s_or_b32 exec_lo, exec_lo, s41
	s_delay_alu instid0(SALU_CYCLE_1)
	s_or_not1_b32 s39, s39, exec_lo
	s_or_not1_b32 s40, s40, exec_lo
.LBB31_48:                              ;   in Loop: Header=BB31_55 Depth=3
	s_or_b32 exec_lo, exec_lo, s38
	s_delay_alu instid0(SALU_CYCLE_1)
	s_and_b32 s39, s39, exec_lo
	s_or_not1_b32 s38, s40, exec_lo
.LBB31_49:                              ;   in Loop: Header=BB31_55 Depth=3
	s_or_b32 exec_lo, exec_lo, s37
	s_delay_alu instid0(SALU_CYCLE_1)
	s_or_not1_b32 s37, s39, exec_lo
	s_or_not1_b32 s38, s38, exec_lo
.LBB31_50:                              ;   in Loop: Header=BB31_55 Depth=3
	s_or_b32 exec_lo, exec_lo, s36
	s_delay_alu instid0(SALU_CYCLE_1)
	s_and_b32 s37, s37, exec_lo
	s_or_not1_b32 s36, s38, exec_lo
.LBB31_51:                              ;   in Loop: Header=BB31_55 Depth=3
	s_or_b32 exec_lo, exec_lo, s35
	s_delay_alu instid0(SALU_CYCLE_1)
	s_or_not1_b32 s35, s37, exec_lo
	s_or_not1_b32 s36, s36, exec_lo
.LBB31_52:                              ;   in Loop: Header=BB31_55 Depth=3
	s_or_b32 exec_lo, exec_lo, s34
	s_delay_alu instid0(SALU_CYCLE_1)
	s_and_b32 s35, s35, exec_lo
	s_or_not1_b32 s34, s36, exec_lo
.LBB31_53:                              ;   in Loop: Header=BB31_55 Depth=3
	s_or_b32 exec_lo, exec_lo, s33
	s_delay_alu instid0(SALU_CYCLE_1)
	s_and_not1_b32 s30, s30, exec_lo
	s_and_b32 s33, s35, exec_lo
	s_and_not1_b32 s27, s27, exec_lo
	s_and_b32 s34, s34, exec_lo
	s_or_b32 s30, s30, s33
	s_or_b32 s27, s27, s34
.LBB31_54:                              ;   in Loop: Header=BB31_55 Depth=3
	s_or_b32 exec_lo, exec_lo, s31
	s_delay_alu instid0(SALU_CYCLE_1) | instskip(SKIP_4) | instid1(SALU_CYCLE_1)
	s_and_b32 s31, exec_lo, s27
	s_wait_alu 0xfffe
	s_or_b32 s25, s31, s25
	s_and_not1_b32 s26, s26, exec_lo
	s_and_b32 s31, s30, exec_lo
	s_or_b32 s26, s26, s31
	s_wait_alu 0xfffe
	s_and_not1_b32 exec_lo, exec_lo, s25
	s_cbranch_execz .LBB31_64
.LBB31_55:                              ;   Parent Loop BB31_40 Depth=1
                                        ;     Parent Loop BB31_46 Depth=2
                                        ; =>    This Inner Loop Header: Depth=3
	s_delay_alu instid0(VALU_DEP_1) | instskip(SKIP_3) | instid1(VALU_DEP_1)
	v_and_b32_e32 v14, 0x1ff, v15
	s_or_b32 s30, s30, exec_lo
	s_or_b32 s27, s27, exec_lo
	s_mov_b32 s31, exec_lo
	v_lshl_add_u32 v21, v14, 2, v18
	ds_load_b32 v21, v21
	s_wait_dscnt 0x0
	v_cmpx_ne_u32_e32 -1, v21
	s_cbranch_execz .LBB31_54
; %bb.56:                               ;   in Loop: Header=BB31_55 Depth=3
	s_mov_b32 s34, -1
	s_mov_b32 s35, 0
	s_mov_b32 s33, exec_lo
	v_cmpx_ne_u32_e64 v21, v12
	s_cbranch_execz .LBB31_53
; %bb.57:                               ;   in Loop: Header=BB31_55 Depth=3
	v_add_nc_u32_e32 v14, 1, v15
	s_mov_b32 s36, -1
	s_mov_b32 s35, -1
	s_mov_b32 s34, exec_lo
	s_delay_alu instid0(VALU_DEP_1) | instskip(NEXT) | instid1(VALU_DEP_1)
	v_and_b32_e32 v14, 0x1ff, v14
	v_lshl_add_u32 v21, v14, 2, v18
	ds_load_b32 v21, v21
	s_wait_dscnt 0x0
	v_cmpx_ne_u32_e32 -1, v21
	s_cbranch_execz .LBB31_52
; %bb.58:                               ;   in Loop: Header=BB31_55 Depth=3
	s_mov_b32 s37, 0
	s_mov_b32 s35, exec_lo
	v_cmpx_ne_u32_e64 v21, v12
	s_cbranch_execz .LBB31_51
; %bb.59:                               ;   in Loop: Header=BB31_55 Depth=3
	v_add_nc_u32_e32 v14, 2, v15
	s_mov_b32 s38, -1
	s_mov_b32 s37, -1
	s_mov_b32 s36, exec_lo
	s_delay_alu instid0(VALU_DEP_1) | instskip(NEXT) | instid1(VALU_DEP_1)
	v_and_b32_e32 v14, 0x1ff, v14
	v_lshl_add_u32 v21, v14, 2, v18
	ds_load_b32 v21, v21
	s_wait_dscnt 0x0
	v_cmpx_ne_u32_e32 -1, v21
	s_cbranch_execz .LBB31_50
; %bb.60:                               ;   in Loop: Header=BB31_55 Depth=3
	s_mov_b32 s39, 0
	s_mov_b32 s37, exec_lo
	v_cmpx_ne_u32_e64 v21, v12
	s_cbranch_execz .LBB31_49
; %bb.61:                               ;   in Loop: Header=BB31_55 Depth=3
	v_add_nc_u32_e32 v14, 3, v15
	s_mov_b32 s40, -1
	s_mov_b32 s39, -1
	s_mov_b32 s38, exec_lo
	s_delay_alu instid0(VALU_DEP_1) | instskip(NEXT) | instid1(VALU_DEP_1)
	v_and_b32_e32 v14, 0x1ff, v14
	v_lshl_add_u32 v15, v14, 2, v18
	ds_load_b32 v21, v15
                                        ; implicit-def: $vgpr15
	s_wait_dscnt 0x0
	v_cmpx_ne_u32_e32 -1, v21
	s_cbranch_execz .LBB31_48
; %bb.62:                               ;   in Loop: Header=BB31_55 Depth=3
	s_mov_b32 s39, 0
	s_mov_b32 s41, exec_lo
                                        ; implicit-def: $vgpr15
	v_cmpx_ne_u32_e64 v21, v12
	s_cbranch_execz .LBB31_47
; %bb.63:                               ;   in Loop: Header=BB31_55 Depth=3
	v_add_nc_u32_e32 v13, -4, v13
	v_add_nc_u32_e32 v15, 1, v14
	s_mov_b32 s39, exec_lo
	s_delay_alu instid0(VALU_DEP_2)
	v_cmp_eq_u32_e32 vcc_lo, 0, v13
	s_or_not1_b32 s40, vcc_lo, exec_lo
	s_branch .LBB31_47
.LBB31_64:                              ;   in Loop: Header=BB31_46 Depth=2
	s_or_b32 exec_lo, exec_lo, s25
	s_xor_b32 s25, s26, -1
	s_wait_alu 0xfffe
	s_and_saveexec_b32 s26, s25
	s_delay_alu instid0(SALU_CYCLE_1)
	s_xor_b32 s25, exec_lo, s26
	s_cbranch_execz .LBB31_45
; %bb.65:                               ;   in Loop: Header=BB31_46 Depth=2
	v_lshl_add_u32 v12, v14, 2, v0
	v_lshlrev_b64_e32 v[14:15], 3, v[8:9]
	ds_load_b32 v12, v12
	v_add_co_u32 v14, vcc_lo, s8, v14
	s_wait_alu 0xfffd
	v_add_co_ci_u32_e64 v15, null, s9, v15, vcc_lo
	s_wait_dscnt 0x0
	v_ashrrev_i32_e32 v13, 31, v12
	s_delay_alu instid0(VALU_DEP_1) | instskip(NEXT) | instid1(VALU_DEP_1)
	v_lshlrev_b64_e32 v[12:13], 3, v[12:13]
	v_add_co_u32 v12, vcc_lo, s8, v12
	s_wait_alu 0xfffd
	s_delay_alu instid0(VALU_DEP_2)
	v_add_co_ci_u32_e64 v13, null, s9, v13, vcc_lo
	s_clause 0x1
	global_load_b64 v[14:15], v[14:15], off
	global_load_b64 v[21:22], v[12:13], off
	s_wait_loadcnt 0x0
	v_fma_f32 v21, -v10, v14, v21
	v_fma_f32 v9, -v11, v14, v22
	s_delay_alu instid0(VALU_DEP_2) | instskip(NEXT) | instid1(VALU_DEP_2)
	v_fmac_f32_e32 v21, v11, v15
	v_fma_f32 v22, -v10, v15, v9
	global_store_b64 v[12:13], v[21:22], off
	s_branch .LBB31_45
.LBB31_66:
	s_or_b32 exec_lo, exec_lo, s14
	s_delay_alu instid0(SALU_CYCLE_1)
	s_mov_b32 s4, exec_lo
	s_wait_loadcnt 0x0
	s_wait_storecnt 0x0
	global_inv scope:SCOPE_SE
	v_cmpx_lt_i32_e32 -1, v6
	s_cbranch_execz .LBB31_88
; %bb.67:
	v_mov_b32_e32 v7, 0
	s_mov_b32 s2, exec_lo
	s_delay_alu instid0(VALU_DEP_1) | instskip(NEXT) | instid1(VALU_DEP_1)
	v_lshlrev_b64_e32 v[8:9], 3, v[6:7]
	v_add_co_u32 v10, vcc_lo, s8, v8
	s_wait_alu 0xfffd
	s_delay_alu instid0(VALU_DEP_2)
	v_add_co_ci_u32_e64 v11, null, s9, v9, vcc_lo
	global_load_b64 v[8:9], v[10:11], off
	s_wait_loadcnt 0x0
	v_cmp_gt_f32_e32 vcc_lo, 0, v8
	s_wait_alu 0xfffd
	v_cndmask_b32_e64 v0, v8, -v8, vcc_lo
	v_cmp_gt_f32_e32 vcc_lo, 0, v9
	s_wait_alu 0xfffd
	v_cndmask_b32_e64 v6, v9, -v9, vcc_lo
	s_delay_alu instid0(VALU_DEP_1)
	v_cmpx_ngt_f32_e32 v0, v6
	s_wait_alu 0xfffe
	s_xor_b32 s5, exec_lo, s2
	s_cbranch_execz .LBB31_71
; %bb.68:
	s_mov_b32 s6, exec_lo
	v_cmpx_neq_f32_e32 0, v9
	s_cbranch_execz .LBB31_70
; %bb.69:
	v_div_scale_f32 v7, null, v6, v6, v0
	v_div_scale_f32 v14, vcc_lo, v0, v6, v0
	s_delay_alu instid0(VALU_DEP_2) | instskip(NEXT) | instid1(TRANS32_DEP_1)
	v_rcp_f32_e32 v12, v7
	v_fma_f32 v13, -v7, v12, 1.0
	s_delay_alu instid0(VALU_DEP_1) | instskip(NEXT) | instid1(VALU_DEP_1)
	v_fmac_f32_e32 v12, v13, v12
	v_mul_f32_e32 v13, v14, v12
	s_delay_alu instid0(VALU_DEP_1) | instskip(NEXT) | instid1(VALU_DEP_1)
	v_fma_f32 v15, -v7, v13, v14
	v_fmac_f32_e32 v13, v15, v12
	s_delay_alu instid0(VALU_DEP_1) | instskip(SKIP_1) | instid1(VALU_DEP_1)
	v_fma_f32 v7, -v7, v13, v14
	s_wait_alu 0xfffd
	v_div_fmas_f32 v7, v7, v12, v13
	s_delay_alu instid0(VALU_DEP_1) | instskip(NEXT) | instid1(VALU_DEP_1)
	v_div_fixup_f32 v0, v7, v6, v0
	v_fma_f32 v0, v0, v0, 1.0
	s_delay_alu instid0(VALU_DEP_1) | instskip(SKIP_2) | instid1(VALU_DEP_2)
	v_mul_f32_e32 v7, 0x4f800000, v0
	v_cmp_gt_f32_e32 vcc_lo, 0xf800000, v0
	s_wait_alu 0xfffd
	v_cndmask_b32_e32 v0, v0, v7, vcc_lo
	s_delay_alu instid0(VALU_DEP_1) | instskip(NEXT) | instid1(TRANS32_DEP_1)
	v_sqrt_f32_e32 v7, v0
	v_add_nc_u32_e32 v12, -1, v7
	v_add_nc_u32_e32 v13, 1, v7
	s_delay_alu instid0(VALU_DEP_2) | instskip(NEXT) | instid1(VALU_DEP_2)
	v_fma_f32 v14, -v12, v7, v0
	v_fma_f32 v15, -v13, v7, v0
	s_delay_alu instid0(VALU_DEP_2) | instskip(SKIP_1) | instid1(VALU_DEP_1)
	v_cmp_ge_f32_e64 s2, 0, v14
	s_wait_alu 0xf1ff
	v_cndmask_b32_e64 v7, v7, v12, s2
	s_delay_alu instid0(VALU_DEP_3) | instskip(SKIP_1) | instid1(VALU_DEP_1)
	v_cmp_lt_f32_e64 s2, 0, v15
	s_wait_alu 0xf1ff
	v_cndmask_b32_e64 v7, v7, v13, s2
	s_delay_alu instid0(VALU_DEP_1) | instskip(NEXT) | instid1(VALU_DEP_1)
	v_mul_f32_e32 v12, 0x37800000, v7
	v_cndmask_b32_e32 v7, v7, v12, vcc_lo
	v_cmp_class_f32_e64 vcc_lo, v0, 0x260
	s_wait_alu 0xfffd
	s_delay_alu instid0(VALU_DEP_2) | instskip(NEXT) | instid1(VALU_DEP_1)
	v_cndmask_b32_e32 v0, v7, v0, vcc_lo
	v_mul_f32_e32 v7, v6, v0
.LBB31_70:
	s_wait_alu 0xfffe
	s_or_b32 exec_lo, exec_lo, s6
                                        ; implicit-def: $vgpr0
                                        ; implicit-def: $vgpr6
.LBB31_71:
	s_wait_alu 0xfffe
	s_and_not1_saveexec_b32 s5, s5
	s_cbranch_execz .LBB31_73
; %bb.72:
	v_div_scale_f32 v7, null, v0, v0, v6
	v_div_scale_f32 v14, vcc_lo, v6, v0, v6
	s_delay_alu instid0(VALU_DEP_2) | instskip(NEXT) | instid1(TRANS32_DEP_1)
	v_rcp_f32_e32 v12, v7
	v_fma_f32 v13, -v7, v12, 1.0
	s_delay_alu instid0(VALU_DEP_1) | instskip(NEXT) | instid1(VALU_DEP_1)
	v_fmac_f32_e32 v12, v13, v12
	v_mul_f32_e32 v13, v14, v12
	s_delay_alu instid0(VALU_DEP_1) | instskip(NEXT) | instid1(VALU_DEP_1)
	v_fma_f32 v15, -v7, v13, v14
	v_fmac_f32_e32 v13, v15, v12
	s_delay_alu instid0(VALU_DEP_1) | instskip(SKIP_1) | instid1(VALU_DEP_1)
	v_fma_f32 v7, -v7, v13, v14
	s_wait_alu 0xfffd
	v_div_fmas_f32 v7, v7, v12, v13
	s_delay_alu instid0(VALU_DEP_1) | instskip(NEXT) | instid1(VALU_DEP_1)
	v_div_fixup_f32 v6, v7, v0, v6
	v_fma_f32 v6, v6, v6, 1.0
	s_delay_alu instid0(VALU_DEP_1) | instskip(SKIP_2) | instid1(VALU_DEP_2)
	v_mul_f32_e32 v7, 0x4f800000, v6
	v_cmp_gt_f32_e32 vcc_lo, 0xf800000, v6
	s_wait_alu 0xfffd
	v_cndmask_b32_e32 v6, v6, v7, vcc_lo
	s_delay_alu instid0(VALU_DEP_1) | instskip(NEXT) | instid1(TRANS32_DEP_1)
	v_sqrt_f32_e32 v7, v6
	v_add_nc_u32_e32 v12, -1, v7
	v_add_nc_u32_e32 v13, 1, v7
	s_delay_alu instid0(VALU_DEP_2) | instskip(NEXT) | instid1(VALU_DEP_2)
	v_fma_f32 v14, -v12, v7, v6
	v_fma_f32 v15, -v13, v7, v6
	s_delay_alu instid0(VALU_DEP_2) | instskip(SKIP_1) | instid1(VALU_DEP_1)
	v_cmp_ge_f32_e64 s2, 0, v14
	s_wait_alu 0xf1ff
	v_cndmask_b32_e64 v7, v7, v12, s2
	s_delay_alu instid0(VALU_DEP_3) | instskip(SKIP_1) | instid1(VALU_DEP_1)
	v_cmp_lt_f32_e64 s2, 0, v15
	s_wait_alu 0xf1ff
	v_cndmask_b32_e64 v7, v7, v13, s2
	s_delay_alu instid0(VALU_DEP_1) | instskip(NEXT) | instid1(VALU_DEP_1)
	v_mul_f32_e32 v12, 0x37800000, v7
	v_cndmask_b32_e32 v7, v7, v12, vcc_lo
	v_cmp_class_f32_e64 vcc_lo, v6, 0x260
	s_wait_alu 0xfffd
	s_delay_alu instid0(VALU_DEP_2) | instskip(NEXT) | instid1(VALU_DEP_1)
	v_cndmask_b32_e32 v6, v7, v6, vcc_lo
	v_mul_f32_e32 v7, v0, v6
.LBB31_73:
	s_wait_alu 0xfffe
	s_or_b32 exec_lo, exec_lo, s5
	s_delay_alu instid0(VALU_DEP_1)
	v_cvt_f64_f32_e32 v[6:7], v7
	v_cmp_ne_u32_e32 vcc_lo, 1, v17
	v_cmp_eq_u32_e64 s2, 0, v16
	s_mov_b32 s5, -1
	s_cbranch_vccnz .LBB31_77
; %bb.74:
	v_cvt_f64_f32_e32 v[12:13], s29
	s_cmp_eq_u64 s[20:21], 8
	s_cselect_b32 vcc_lo, -1, 0
	s_wait_alu 0xfffe
	s_delay_alu instid0(VALU_DEP_1) | instskip(NEXT) | instid1(VALU_DEP_1)
	v_dual_cndmask_b32 v4, v13, v4 :: v_dual_cndmask_b32 v3, v12, v3
	v_cmp_ge_f64_e32 vcc_lo, v[3:4], v[6:7]
	s_and_b32 s6, s2, vcc_lo
	s_wait_alu 0xfffe
	s_and_saveexec_b32 s5, s6
	s_cbranch_execz .LBB31_76
; %bb.75:
	v_dual_mov_b32 v3, s3 :: v_dual_mov_b32 v4, s22
	global_store_b64 v[10:11], v[3:4], off
	s_wait_storecnt 0x0
	global_inv scope:SCOPE_DEV
.LBB31_76:
	s_wait_alu 0xfffe
	s_or_b32 exec_lo, exec_lo, s5
	s_mov_b32 s5, 0
.LBB31_77:
	s_wait_alu 0xfffe
	s_and_not1_b32 vcc_lo, exec_lo, s5
	s_wait_alu 0xfffe
	s_cbranch_vccnz .LBB31_88
; %bb.78:
	s_load_b64 s[0:1], s[0:1], 0x48
	v_add_nc_u32_e32 v0, s28, v5
	s_wait_kmcnt 0x0
	v_cmp_ge_f64_e32 vcc_lo, s[0:1], v[6:7]
	s_and_b32 s1, s2, vcc_lo
	s_wait_alu 0xfffe
	s_and_saveexec_b32 s0, s1
	s_cbranch_execz .LBB31_83
; %bb.79:
	s_mov_b32 s3, exec_lo
	s_brev_b32 s1, -2
.LBB31_80:                              ; =>This Inner Loop Header: Depth=1
	s_wait_alu 0xfffe
	s_ctz_i32_b32 s5, s3
	s_wait_alu 0xfffe
	v_readlane_b32 s6, v0, s5
	s_lshl_b32 s5, 1, s5
	s_wait_alu 0xfffe
	s_and_not1_b32 s3, s3, s5
	s_min_i32 s1, s1, s6
	s_wait_alu 0xfffe
	s_cmp_lg_u32 s3, 0
	s_cbranch_scc1 .LBB31_80
; %bb.81:
	v_mbcnt_lo_u32_b32 v3, exec_lo, 0
	s_mov_b32 s3, exec_lo
	s_delay_alu instid0(VALU_DEP_1)
	v_cmpx_eq_u32_e32 0, v3
	s_wait_alu 0xfffe
	s_xor_b32 s3, exec_lo, s3
	s_cbranch_execz .LBB31_83
; %bb.82:
	v_dual_mov_b32 v3, 0 :: v_dual_mov_b32 v4, s1
	global_atomic_min_i32 v3, v4, s[18:19] scope:SCOPE_DEV
.LBB31_83:
	s_wait_alu 0xfffe
	s_or_b32 exec_lo, exec_lo, s0
	v_cmp_eq_f32_e32 vcc_lo, 0, v8
	v_cmp_eq_f32_e64 s0, 0, v9
	s_and_b32 s0, vcc_lo, s0
	s_wait_alu 0xfffe
	s_and_b32 s0, s2, s0
	s_wait_alu 0xfffe
	s_and_b32 exec_lo, exec_lo, s0
	s_cbranch_execz .LBB31_88
; %bb.84:
	s_mov_b32 s1, exec_lo
	s_brev_b32 s0, -2
.LBB31_85:                              ; =>This Inner Loop Header: Depth=1
	s_wait_alu 0xfffe
	s_ctz_i32_b32 s2, s1
	s_wait_alu 0xfffe
	v_readlane_b32 s3, v0, s2
	s_lshl_b32 s2, 1, s2
	s_wait_alu 0xfffe
	s_and_not1_b32 s1, s1, s2
	s_min_i32 s0, s0, s3
	s_wait_alu 0xfffe
	s_cmp_lg_u32 s1, 0
	s_cbranch_scc1 .LBB31_85
; %bb.86:
	v_mbcnt_lo_u32_b32 v0, exec_lo, 0
	s_mov_b32 s1, exec_lo
	s_delay_alu instid0(VALU_DEP_1)
	v_cmpx_eq_u32_e32 0, v0
	s_wait_alu 0xfffe
	s_xor_b32 s1, exec_lo, s1
	s_cbranch_execz .LBB31_88
; %bb.87:
	v_dual_mov_b32 v0, 0 :: v_dual_mov_b32 v3, s0
	global_atomic_min_i32 v0, v3, s[16:17] scope:SCOPE_DEV
.LBB31_88:
	s_wait_alu 0xfffe
	s_or_b32 exec_lo, exec_lo, s4
	v_cmp_eq_u32_e32 vcc_lo, 0, v16
	s_wait_loadcnt 0x0
	s_wait_storecnt 0x0
	global_inv scope:SCOPE_DEV
	s_and_b32 exec_lo, exec_lo, vcc_lo
	s_cbranch_execz .LBB31_90
; %bb.89:
	v_add_co_u32 v0, vcc_lo, s12, v1
	s_wait_alu 0xfffd
	v_add_co_ci_u32_e64 v1, null, s13, v2, vcc_lo
	v_mov_b32_e32 v2, 1
	s_wait_loadcnt 0x0
	global_store_b32 v[0:1], v2, off scope:SCOPE_DEV
.LBB31_90:
	s_endpgm
	.section	.rodata,"a",@progbits
	.p2align	6, 0x0
	.amdhsa_kernel _ZN9rocsparseL12csrilu0_hashILj256ELj32ELj16E21rocsparse_complex_numIfEEEviPKiS4_PT2_S4_PiS4_S7_S7_d21rocsparse_index_base_imNS_24const_host_device_scalarIfEENS9_IdEENS9_IS5_EEb
		.amdhsa_group_segment_fixed_size 32768
		.amdhsa_private_segment_fixed_size 0
		.amdhsa_kernarg_size 124
		.amdhsa_user_sgpr_count 2
		.amdhsa_user_sgpr_dispatch_ptr 0
		.amdhsa_user_sgpr_queue_ptr 0
		.amdhsa_user_sgpr_kernarg_segment_ptr 1
		.amdhsa_user_sgpr_dispatch_id 0
		.amdhsa_user_sgpr_private_segment_size 0
		.amdhsa_wavefront_size32 1
		.amdhsa_uses_dynamic_stack 0
		.amdhsa_enable_private_segment 0
		.amdhsa_system_sgpr_workgroup_id_x 1
		.amdhsa_system_sgpr_workgroup_id_y 0
		.amdhsa_system_sgpr_workgroup_id_z 0
		.amdhsa_system_sgpr_workgroup_info 0
		.amdhsa_system_vgpr_workitem_id 0
		.amdhsa_next_free_vgpr 169
		.amdhsa_next_free_sgpr 42
		.amdhsa_reserve_vcc 1
		.amdhsa_float_round_mode_32 0
		.amdhsa_float_round_mode_16_64 0
		.amdhsa_float_denorm_mode_32 3
		.amdhsa_float_denorm_mode_16_64 3
		.amdhsa_fp16_overflow 0
		.amdhsa_workgroup_processor_mode 1
		.amdhsa_memory_ordered 1
		.amdhsa_forward_progress 1
		.amdhsa_inst_pref_size 32
		.amdhsa_round_robin_scheduling 0
		.amdhsa_exception_fp_ieee_invalid_op 0
		.amdhsa_exception_fp_denorm_src 0
		.amdhsa_exception_fp_ieee_div_zero 0
		.amdhsa_exception_fp_ieee_overflow 0
		.amdhsa_exception_fp_ieee_underflow 0
		.amdhsa_exception_fp_ieee_inexact 0
		.amdhsa_exception_int_div_zero 0
	.end_amdhsa_kernel
	.section	.text._ZN9rocsparseL12csrilu0_hashILj256ELj32ELj16E21rocsparse_complex_numIfEEEviPKiS4_PT2_S4_PiS4_S7_S7_d21rocsparse_index_base_imNS_24const_host_device_scalarIfEENS9_IdEENS9_IS5_EEb,"axG",@progbits,_ZN9rocsparseL12csrilu0_hashILj256ELj32ELj16E21rocsparse_complex_numIfEEEviPKiS4_PT2_S4_PiS4_S7_S7_d21rocsparse_index_base_imNS_24const_host_device_scalarIfEENS9_IdEENS9_IS5_EEb,comdat
.Lfunc_end31:
	.size	_ZN9rocsparseL12csrilu0_hashILj256ELj32ELj16E21rocsparse_complex_numIfEEEviPKiS4_PT2_S4_PiS4_S7_S7_d21rocsparse_index_base_imNS_24const_host_device_scalarIfEENS9_IdEENS9_IS5_EEb, .Lfunc_end31-_ZN9rocsparseL12csrilu0_hashILj256ELj32ELj16E21rocsparse_complex_numIfEEEviPKiS4_PT2_S4_PiS4_S7_S7_d21rocsparse_index_base_imNS_24const_host_device_scalarIfEENS9_IdEENS9_IS5_EEb
                                        ; -- End function
	.set _ZN9rocsparseL12csrilu0_hashILj256ELj32ELj16E21rocsparse_complex_numIfEEEviPKiS4_PT2_S4_PiS4_S7_S7_d21rocsparse_index_base_imNS_24const_host_device_scalarIfEENS9_IdEENS9_IS5_EEb.num_vgpr, 26
	.set _ZN9rocsparseL12csrilu0_hashILj256ELj32ELj16E21rocsparse_complex_numIfEEEviPKiS4_PT2_S4_PiS4_S7_S7_d21rocsparse_index_base_imNS_24const_host_device_scalarIfEENS9_IdEENS9_IS5_EEb.num_agpr, 0
	.set _ZN9rocsparseL12csrilu0_hashILj256ELj32ELj16E21rocsparse_complex_numIfEEEviPKiS4_PT2_S4_PiS4_S7_S7_d21rocsparse_index_base_imNS_24const_host_device_scalarIfEENS9_IdEENS9_IS5_EEb.numbered_sgpr, 42
	.set _ZN9rocsparseL12csrilu0_hashILj256ELj32ELj16E21rocsparse_complex_numIfEEEviPKiS4_PT2_S4_PiS4_S7_S7_d21rocsparse_index_base_imNS_24const_host_device_scalarIfEENS9_IdEENS9_IS5_EEb.num_named_barrier, 0
	.set _ZN9rocsparseL12csrilu0_hashILj256ELj32ELj16E21rocsparse_complex_numIfEEEviPKiS4_PT2_S4_PiS4_S7_S7_d21rocsparse_index_base_imNS_24const_host_device_scalarIfEENS9_IdEENS9_IS5_EEb.private_seg_size, 0
	.set _ZN9rocsparseL12csrilu0_hashILj256ELj32ELj16E21rocsparse_complex_numIfEEEviPKiS4_PT2_S4_PiS4_S7_S7_d21rocsparse_index_base_imNS_24const_host_device_scalarIfEENS9_IdEENS9_IS5_EEb.uses_vcc, 1
	.set _ZN9rocsparseL12csrilu0_hashILj256ELj32ELj16E21rocsparse_complex_numIfEEEviPKiS4_PT2_S4_PiS4_S7_S7_d21rocsparse_index_base_imNS_24const_host_device_scalarIfEENS9_IdEENS9_IS5_EEb.uses_flat_scratch, 0
	.set _ZN9rocsparseL12csrilu0_hashILj256ELj32ELj16E21rocsparse_complex_numIfEEEviPKiS4_PT2_S4_PiS4_S7_S7_d21rocsparse_index_base_imNS_24const_host_device_scalarIfEENS9_IdEENS9_IS5_EEb.has_dyn_sized_stack, 0
	.set _ZN9rocsparseL12csrilu0_hashILj256ELj32ELj16E21rocsparse_complex_numIfEEEviPKiS4_PT2_S4_PiS4_S7_S7_d21rocsparse_index_base_imNS_24const_host_device_scalarIfEENS9_IdEENS9_IS5_EEb.has_recursion, 0
	.set _ZN9rocsparseL12csrilu0_hashILj256ELj32ELj16E21rocsparse_complex_numIfEEEviPKiS4_PT2_S4_PiS4_S7_S7_d21rocsparse_index_base_imNS_24const_host_device_scalarIfEENS9_IdEENS9_IS5_EEb.has_indirect_call, 0
	.section	.AMDGPU.csdata,"",@progbits
; Kernel info:
; codeLenInByte = 3972
; TotalNumSgprs: 44
; NumVgprs: 26
; ScratchSize: 0
; MemoryBound: 0
; FloatMode: 240
; IeeeMode: 1
; LDSByteSize: 32768 bytes/workgroup (compile time only)
; SGPRBlocks: 0
; VGPRBlocks: 21
; NumSGPRsForWavesPerEU: 44
; NumVGPRsForWavesPerEU: 169
; Occupancy: 8
; WaveLimiterHint : 1
; COMPUTE_PGM_RSRC2:SCRATCH_EN: 0
; COMPUTE_PGM_RSRC2:USER_SGPR: 2
; COMPUTE_PGM_RSRC2:TRAP_HANDLER: 0
; COMPUTE_PGM_RSRC2:TGID_X_EN: 1
; COMPUTE_PGM_RSRC2:TGID_Y_EN: 0
; COMPUTE_PGM_RSRC2:TGID_Z_EN: 0
; COMPUTE_PGM_RSRC2:TIDIG_COMP_CNT: 0
	.section	.text._ZN9rocsparseL17csrilu0_binsearchILj256ELj32ELb0E21rocsparse_complex_numIfEEEviPKiS4_PT2_S4_PiS4_S7_S7_d21rocsparse_index_base_imNS_24const_host_device_scalarIfEENS9_IdEENS9_IS5_EEb,"axG",@progbits,_ZN9rocsparseL17csrilu0_binsearchILj256ELj32ELb0E21rocsparse_complex_numIfEEEviPKiS4_PT2_S4_PiS4_S7_S7_d21rocsparse_index_base_imNS_24const_host_device_scalarIfEENS9_IdEENS9_IS5_EEb,comdat
	.globl	_ZN9rocsparseL17csrilu0_binsearchILj256ELj32ELb0E21rocsparse_complex_numIfEEEviPKiS4_PT2_S4_PiS4_S7_S7_d21rocsparse_index_base_imNS_24const_host_device_scalarIfEENS9_IdEENS9_IS5_EEb ; -- Begin function _ZN9rocsparseL17csrilu0_binsearchILj256ELj32ELb0E21rocsparse_complex_numIfEEEviPKiS4_PT2_S4_PiS4_S7_S7_d21rocsparse_index_base_imNS_24const_host_device_scalarIfEENS9_IdEENS9_IS5_EEb
	.p2align	8
	.type	_ZN9rocsparseL17csrilu0_binsearchILj256ELj32ELb0E21rocsparse_complex_numIfEEEviPKiS4_PT2_S4_PiS4_S7_S7_d21rocsparse_index_base_imNS_24const_host_device_scalarIfEENS9_IdEENS9_IS5_EEb,@function
_ZN9rocsparseL17csrilu0_binsearchILj256ELj32ELb0E21rocsparse_complex_numIfEEEviPKiS4_PT2_S4_PiS4_S7_S7_d21rocsparse_index_base_imNS_24const_host_device_scalarIfEENS9_IdEENS9_IS5_EEb: ; @_ZN9rocsparseL17csrilu0_binsearchILj256ELj32ELb0E21rocsparse_complex_numIfEEEviPKiS4_PT2_S4_PiS4_S7_S7_d21rocsparse_index_base_imNS_24const_host_device_scalarIfEENS9_IdEENS9_IS5_EEb
; %bb.0:
	s_clause 0x2
	s_load_b32 s2, s[0:1], 0x78
	s_load_b64 s[28:29], s[0:1], 0x50
	s_load_b256 s[20:27], s[0:1], 0x58
	s_wait_kmcnt 0x0
	s_bitcmp1_b32 s2, 0
	s_cselect_b32 s4, -1, 0
	s_cmp_eq_u32 s29, 0
	s_cselect_b32 s2, -1, 0
	s_cmp_lg_u32 s29, 0
	s_cselect_b32 s5, -1, 0
	s_or_b32 s7, s2, s4
	s_delay_alu instid0(SALU_CYCLE_1)
	s_xor_b32 s6, s7, -1
	s_and_b32 s2, s2, exec_lo
	s_cselect_b32 s3, 0, s25
	s_cselect_b32 s2, 0, s24
	;; [unrolled: 1-line block ×3, first 2 shown]
	s_and_b32 vcc_lo, exec_lo, s7
	s_cbranch_vccnz .LBB32_2
; %bb.1:
	s_load_b32 s29, s[22:23], 0x0
	s_mov_b64 s[2:3], s[24:25]
.LBB32_2:
	s_delay_alu instid0(SALU_CYCLE_1)
	v_dual_mov_b32 v4, s3 :: v_dual_mov_b32 v3, s2
	s_and_not1_b32 vcc_lo, exec_lo, s6
	s_cbranch_vccnz .LBB32_4
; %bb.3:
	v_dual_mov_b32 v1, s24 :: v_dual_mov_b32 v2, s25
	flat_load_b64 v[3:4], v[1:2]
.LBB32_4:
	v_cndmask_b32_e64 v16, 0, 1, s5
	s_mov_b32 s3, 0
	s_and_not1_b32 vcc_lo, exec_lo, s5
	s_mov_b32 s22, 0
	s_cbranch_vccnz .LBB32_10
; %bb.5:
	s_xor_b32 s2, s4, -1
	s_mov_b32 s3, s26
	s_wait_alu 0xfffe
	v_cndmask_b32_e64 v1, 0, 1, s2
	s_and_not1_b32 vcc_lo, exec_lo, s2
	s_cbranch_vccnz .LBB32_7
; %bb.6:
	s_load_b32 s3, s[26:27], 0x0
.LBB32_7:
	s_delay_alu instid0(VALU_DEP_1)
	v_cmp_ne_u32_e32 vcc_lo, 1, v1
	s_cbranch_vccnz .LBB32_9
; %bb.8:
	s_load_b32 s27, s[26:27], 0x4
.LBB32_9:
	s_wait_kmcnt 0x0
	s_mov_b32 s22, s27
.LBB32_10:
	s_load_b32 s2, s[0:1], 0x0
	v_lshrrev_b32_e32 v1, 5, v0
	s_lshl_b32 s4, ttmp9, 3
	s_wait_alu 0xfffe
	s_delay_alu instid0(VALU_DEP_1) | instskip(SKIP_1) | instid1(VALU_DEP_1)
	v_and_or_b32 v1, 0x7fffff8, s4, v1
	s_wait_kmcnt 0x0
	v_cmp_gt_i32_e32 vcc_lo, s2, v1
	s_and_saveexec_b32 s2, vcc_lo
	s_cbranch_execz .LBB32_52
; %bb.11:
	s_load_b512 s[4:19], s[0:1], 0x8
	v_lshlrev_b32_e32 v1, 2, v1
	v_and_b32_e32 v0, 31, v0
	s_wait_kmcnt 0x0
	global_load_b32 v5, v1, s[14:15]
	s_mov_b32 s14, exec_lo
	s_wait_loadcnt 0x0
	v_ashrrev_i32_e32 v6, 31, v5
	s_delay_alu instid0(VALU_DEP_1) | instskip(NEXT) | instid1(VALU_DEP_1)
	v_lshlrev_b64_e32 v[1:2], 2, v[5:6]
	v_add_co_u32 v8, vcc_lo, s4, v1
	s_delay_alu instid0(VALU_DEP_1)
	v_add_co_ci_u32_e64 v9, null, s5, v2, vcc_lo
	v_add_co_u32 v6, vcc_lo, s10, v1
	s_wait_alu 0xfffd
	v_add_co_ci_u32_e64 v7, null, s11, v2, vcc_lo
	global_load_b32 v10, v[8:9], off
	global_load_b32 v6, v[6:7], off
	s_wait_loadcnt 0x1
	v_subrev_nc_u32_e32 v7, s28, v10
	s_wait_loadcnt 0x0
	s_delay_alu instid0(VALU_DEP_1)
	v_cmpx_lt_i32_e64 v7, v6
	s_cbranch_execz .LBB32_28
; %bb.12:
	global_load_b32 v8, v[8:9], off offset:4
	v_add_nc_u32_e32 v17, 1, v0
	s_mov_b32 s15, 0
	s_wait_loadcnt 0x0
	v_xad_u32 v18, s28, -1, v8
	s_branch .LBB32_15
.LBB32_13:                              ;   in Loop: Header=BB32_15 Depth=1
	s_or_b32 exec_lo, exec_lo, s23
	v_cmp_ge_i32_e32 vcc_lo, v7, v6
	s_or_not1_b32 s23, vcc_lo, exec_lo
.LBB32_14:                              ;   in Loop: Header=BB32_15 Depth=1
	s_wait_alu 0xfffe
	s_or_b32 exec_lo, exec_lo, s2
	s_delay_alu instid0(SALU_CYCLE_1) | instskip(SKIP_2) | instid1(SALU_CYCLE_1)
	s_and_b32 s2, exec_lo, s23
	s_wait_alu 0xfffe
	s_or_b32 s15, s2, s15
	s_and_not1_b32 exec_lo, exec_lo, s15
	s_cbranch_execz .LBB32_28
.LBB32_15:                              ; =>This Loop Header: Depth=1
                                        ;     Child Loop BB32_17 Depth 2
                                        ;     Child Loop BB32_22 Depth 2
                                        ;       Child Loop BB32_24 Depth 3
	v_ashrrev_i32_e32 v8, 31, v7
	s_mov_b32 s2, exec_lo
	s_delay_alu instid0(VALU_DEP_1) | instskip(SKIP_1) | instid1(VALU_DEP_2)
	v_lshlrev_b64_e32 v[9:10], 2, v[7:8]
	v_lshlrev_b64_e32 v[12:13], 3, v[7:8]
	v_add_co_u32 v9, vcc_lo, s6, v9
	s_wait_alu 0xfffd
	s_delay_alu instid0(VALU_DEP_3) | instskip(NEXT) | instid1(VALU_DEP_3)
	v_add_co_ci_u32_e64 v10, null, s7, v10, vcc_lo
	v_add_co_u32 v12, vcc_lo, s8, v12
	s_wait_alu 0xfffd
	v_add_co_ci_u32_e64 v13, null, s9, v13, vcc_lo
	global_load_b32 v9, v[9:10], off
	s_wait_loadcnt 0x0
	v_subrev_nc_u32_e32 v9, s28, v9
	s_delay_alu instid0(VALU_DEP_1) | instskip(NEXT) | instid1(VALU_DEP_1)
	v_ashrrev_i32_e32 v10, 31, v9
	v_lshlrev_b64_e32 v[8:9], 2, v[9:10]
	s_delay_alu instid0(VALU_DEP_1) | instskip(SKIP_1) | instid1(VALU_DEP_2)
	v_add_co_u32 v14, vcc_lo, s4, v8
	s_wait_alu 0xfffd
	v_add_co_ci_u32_e64 v15, null, s5, v9, vcc_lo
	v_add_co_u32 v19, vcc_lo, s10, v8
	s_wait_alu 0xfffd
	v_add_co_ci_u32_e64 v20, null, s11, v9, vcc_lo
	;; [unrolled: 3-line block ×3, first 2 shown]
	global_load_b64 v[8:9], v[12:13], off
	global_load_b32 v15, v[14:15], off offset:4
	global_load_b32 v14, v[19:20], off
	global_load_b32 v19, v[10:11], off scope:SCOPE_DEV
	s_wait_loadcnt 0x0
	v_cmpx_eq_u32_e32 0, v19
	s_cbranch_execz .LBB32_18
; %bb.16:                               ;   in Loop: Header=BB32_15 Depth=1
	s_mov_b32 s23, 0
.LBB32_17:                              ;   Parent Loop BB32_15 Depth=1
                                        ; =>  This Inner Loop Header: Depth=2
	global_load_b32 v19, v[10:11], off scope:SCOPE_DEV
	s_wait_loadcnt 0x0
	v_cmp_ne_u32_e32 vcc_lo, 0, v19
	s_or_b32 s23, vcc_lo, s23
	s_delay_alu instid0(SALU_CYCLE_1)
	s_and_not1_b32 exec_lo, exec_lo, s23
	s_cbranch_execnz .LBB32_17
.LBB32_18:                              ;   in Loop: Header=BB32_15 Depth=1
	s_wait_alu 0xfffe
	s_or_b32 exec_lo, exec_lo, s2
	v_subrev_nc_u32_e32 v19, s28, v15
	v_cmp_eq_u32_e32 vcc_lo, -1, v14
	s_wait_dscnt 0x0
	global_inv scope:SCOPE_DEV
	s_mov_b32 s23, -1
	v_add_nc_u32_e32 v10, -1, v19
	s_wait_alu 0xfffd
	s_delay_alu instid0(VALU_DEP_1) | instskip(NEXT) | instid1(VALU_DEP_1)
	v_cndmask_b32_e32 v10, v14, v10, vcc_lo
	v_ashrrev_i32_e32 v11, 31, v10
	s_delay_alu instid0(VALU_DEP_1) | instskip(NEXT) | instid1(VALU_DEP_1)
	v_lshlrev_b64_e32 v[14:15], 3, v[10:11]
	v_add_co_u32 v14, vcc_lo, s8, v14
	s_wait_alu 0xfffd
	s_delay_alu instid0(VALU_DEP_2)
	v_add_co_ci_u32_e64 v15, null, s9, v15, vcc_lo
	global_load_b64 v[14:15], v[14:15], off
	s_wait_loadcnt 0x0
	v_cmp_neq_f32_e32 vcc_lo, 0, v14
	v_cmp_neq_f32_e64 s2, 0, v15
	s_or_b32 s2, vcc_lo, s2
	s_wait_alu 0xfffe
	s_and_saveexec_b32 s24, s2
	s_wait_alu 0xfffe
	s_xor_b32 s2, exec_lo, s24
	s_cbranch_execz .LBB32_14
; %bb.19:                               ;   in Loop: Header=BB32_15 Depth=1
	v_mul_f32_e32 v11, v15, v15
	v_add_nc_u32_e32 v7, 1, v7
	s_mov_b32 s23, exec_lo
	s_delay_alu instid0(VALU_DEP_2) | instskip(NEXT) | instid1(VALU_DEP_1)
	v_fmac_f32_e32 v11, v14, v14
	v_div_scale_f32 v20, null, v11, v11, 1.0
	v_div_scale_f32 v23, vcc_lo, 1.0, v11, 1.0
	s_delay_alu instid0(VALU_DEP_2) | instskip(NEXT) | instid1(TRANS32_DEP_1)
	v_rcp_f32_e32 v21, v20
	v_fma_f32 v22, -v20, v21, 1.0
	s_delay_alu instid0(VALU_DEP_1) | instskip(NEXT) | instid1(VALU_DEP_1)
	v_fmac_f32_e32 v21, v22, v21
	v_mul_f32_e32 v22, v23, v21
	s_delay_alu instid0(VALU_DEP_1) | instskip(NEXT) | instid1(VALU_DEP_1)
	v_fma_f32 v24, -v20, v22, v23
	v_fmac_f32_e32 v22, v24, v21
	s_delay_alu instid0(VALU_DEP_1) | instskip(SKIP_2) | instid1(VALU_DEP_2)
	v_fma_f32 v20, -v20, v22, v23
	v_mul_f32_e32 v23, v9, v15
	v_mul_f32_e64 v15, v15, -v8
	v_fmac_f32_e32 v23, v8, v14
	v_add_nc_u32_e32 v8, v17, v10
	s_wait_alu 0xfffd
	v_div_fmas_f32 v20, v20, v21, v22
	s_delay_alu instid0(VALU_DEP_1) | instskip(NEXT) | instid1(VALU_DEP_1)
	v_div_fixup_f32 v11, v20, v11, 1.0
	v_dual_fmac_f32 v15, v9, v14 :: v_dual_mul_f32 v10, v23, v11
	s_delay_alu instid0(VALU_DEP_1)
	v_mul_f32_e32 v11, v15, v11
	global_store_b64 v[12:13], v[10:11], off
	v_cmpx_lt_i32_e64 v8, v19
	s_cbranch_execz .LBB32_13
; %bb.20:                               ;   in Loop: Header=BB32_15 Depth=1
	v_mov_b32_e32 v12, v7
	s_mov_b32 s24, 0
	s_branch .LBB32_22
.LBB32_21:                              ;   in Loop: Header=BB32_22 Depth=2
	s_wait_alu 0xfffe
	s_or_b32 exec_lo, exec_lo, s25
	v_add_nc_u32_e32 v8, 32, v8
	s_delay_alu instid0(VALU_DEP_1)
	v_cmp_ge_i32_e32 vcc_lo, v8, v19
	s_or_b32 s24, vcc_lo, s24
	s_wait_alu 0xfffe
	s_and_not1_b32 exec_lo, exec_lo, s24
	s_cbranch_execz .LBB32_13
.LBB32_22:                              ;   Parent Loop BB32_15 Depth=1
                                        ; =>  This Loop Header: Depth=2
                                        ;       Child Loop BB32_24 Depth 3
	s_delay_alu instid0(VALU_DEP_1) | instskip(SKIP_1) | instid1(VALU_DEP_1)
	v_add_nc_u32_e32 v9, v12, v18
	s_mov_b32 s25, exec_lo
	v_ashrrev_i32_e32 v13, 1, v9
	v_ashrrev_i32_e32 v9, 31, v8
	s_delay_alu instid0(VALU_DEP_2) | instskip(NEXT) | instid1(VALU_DEP_2)
	v_ashrrev_i32_e32 v14, 31, v13
	v_lshlrev_b64_e32 v[20:21], 2, v[8:9]
	s_delay_alu instid0(VALU_DEP_2) | instskip(NEXT) | instid1(VALU_DEP_2)
	v_lshlrev_b64_e32 v[14:15], 2, v[13:14]
	v_add_co_u32 v20, vcc_lo, s6, v20
	s_wait_alu 0xfffd
	s_delay_alu instid0(VALU_DEP_3) | instskip(NEXT) | instid1(VALU_DEP_3)
	v_add_co_ci_u32_e64 v21, null, s7, v21, vcc_lo
	v_add_co_u32 v22, vcc_lo, s6, v14
	s_wait_alu 0xfffd
	v_add_co_ci_u32_e64 v23, null, s7, v15, vcc_lo
	s_clause 0x1
	global_load_b32 v15, v[20:21], off
	global_load_b32 v14, v[22:23], off
	v_cmpx_lt_i32_e64 v12, v18
	s_cbranch_execz .LBB32_26
; %bb.23:                               ;   in Loop: Header=BB32_22 Depth=2
	v_mov_b32_e32 v20, v18
	s_mov_b32 s26, 0
.LBB32_24:                              ;   Parent Loop BB32_15 Depth=1
                                        ;     Parent Loop BB32_22 Depth=2
                                        ; =>    This Inner Loop Header: Depth=3
	s_wait_loadcnt 0x0
	v_cmp_lt_i32_e32 vcc_lo, v14, v15
	s_wait_alu 0xfffd
	v_dual_cndmask_b32 v20, v13, v20 :: v_dual_add_nc_u32 v21, 1, v13
	s_delay_alu instid0(VALU_DEP_1) | instskip(NEXT) | instid1(VALU_DEP_1)
	v_cndmask_b32_e32 v12, v12, v21, vcc_lo
	v_add_nc_u32_e32 v13, v20, v12
	s_delay_alu instid0(VALU_DEP_1) | instskip(NEXT) | instid1(VALU_DEP_1)
	v_ashrrev_i32_e32 v13, 1, v13
	v_ashrrev_i32_e32 v14, 31, v13
	s_delay_alu instid0(VALU_DEP_1) | instskip(NEXT) | instid1(VALU_DEP_1)
	v_lshlrev_b64_e32 v[21:22], 2, v[13:14]
	v_add_co_u32 v21, vcc_lo, s6, v21
	s_wait_alu 0xfffd
	s_delay_alu instid0(VALU_DEP_2) | instskip(SKIP_3) | instid1(SALU_CYCLE_1)
	v_add_co_ci_u32_e64 v22, null, s7, v22, vcc_lo
	v_cmp_ge_i32_e32 vcc_lo, v12, v20
	global_load_b32 v14, v[21:22], off
	s_or_b32 s26, vcc_lo, s26
	s_and_not1_b32 exec_lo, exec_lo, s26
	s_cbranch_execnz .LBB32_24
; %bb.25:                               ;   in Loop: Header=BB32_22 Depth=2
	s_or_b32 exec_lo, exec_lo, s26
.LBB32_26:                              ;   in Loop: Header=BB32_22 Depth=2
	s_wait_alu 0xfffe
	s_or_b32 exec_lo, exec_lo, s25
	s_delay_alu instid0(SALU_CYCLE_1)
	s_mov_b32 s25, exec_lo
	s_wait_loadcnt 0x0
	v_cmpx_eq_u32_e64 v14, v15
	s_cbranch_execz .LBB32_21
; %bb.27:                               ;   in Loop: Header=BB32_22 Depth=2
	v_ashrrev_i32_e32 v13, 31, v12
	v_lshlrev_b64_e32 v[14:15], 3, v[8:9]
	s_delay_alu instid0(VALU_DEP_2) | instskip(NEXT) | instid1(VALU_DEP_2)
	v_lshlrev_b64_e32 v[20:21], 3, v[12:13]
	v_add_co_u32 v13, vcc_lo, s8, v14
	s_wait_alu 0xfffd
	s_delay_alu instid0(VALU_DEP_3) | instskip(NEXT) | instid1(VALU_DEP_3)
	v_add_co_ci_u32_e64 v14, null, s9, v15, vcc_lo
	v_add_co_u32 v20, vcc_lo, s8, v20
	s_wait_alu 0xfffd
	v_add_co_ci_u32_e64 v21, null, s9, v21, vcc_lo
	s_clause 0x1
	global_load_b64 v[13:14], v[13:14], off
	global_load_b64 v[22:23], v[20:21], off
	s_wait_loadcnt 0x0
	v_fma_f32 v22, -v10, v13, v22
	v_fma_f32 v9, -v11, v13, v23
	s_delay_alu instid0(VALU_DEP_2) | instskip(NEXT) | instid1(VALU_DEP_2)
	v_fmac_f32_e32 v22, v11, v14
	v_fma_f32 v23, -v10, v14, v9
	global_store_b64 v[20:21], v[22:23], off
	s_branch .LBB32_21
.LBB32_28:
	s_or_b32 exec_lo, exec_lo, s14
	s_delay_alu instid0(SALU_CYCLE_1)
	s_mov_b32 s4, exec_lo
	s_wait_storecnt_dscnt 0x0
	global_inv scope:SCOPE_SE
	v_cmpx_lt_i32_e32 -1, v6
	s_cbranch_execz .LBB32_50
; %bb.29:
	v_mov_b32_e32 v7, 0
	s_mov_b32 s2, exec_lo
	s_delay_alu instid0(VALU_DEP_1) | instskip(NEXT) | instid1(VALU_DEP_1)
	v_lshlrev_b64_e32 v[8:9], 3, v[6:7]
	v_add_co_u32 v10, vcc_lo, s8, v8
	s_wait_alu 0xfffd
	s_delay_alu instid0(VALU_DEP_2)
	v_add_co_ci_u32_e64 v11, null, s9, v9, vcc_lo
	global_load_b64 v[8:9], v[10:11], off
	s_wait_loadcnt 0x0
	v_cmp_gt_f32_e32 vcc_lo, 0, v8
	s_wait_alu 0xfffd
	v_cndmask_b32_e64 v6, v8, -v8, vcc_lo
	v_cmp_gt_f32_e32 vcc_lo, 0, v9
	s_wait_alu 0xfffd
	v_cndmask_b32_e64 v12, v9, -v9, vcc_lo
	s_delay_alu instid0(VALU_DEP_1)
	v_cmpx_ngt_f32_e32 v6, v12
	s_wait_alu 0xfffe
	s_xor_b32 s5, exec_lo, s2
	s_cbranch_execz .LBB32_33
; %bb.30:
	s_mov_b32 s6, exec_lo
	v_cmpx_neq_f32_e32 0, v9
	s_cbranch_execz .LBB32_32
; %bb.31:
	v_div_scale_f32 v7, null, v12, v12, v6
	v_div_scale_f32 v15, vcc_lo, v6, v12, v6
	s_delay_alu instid0(VALU_DEP_2) | instskip(NEXT) | instid1(TRANS32_DEP_1)
	v_rcp_f32_e32 v13, v7
	v_fma_f32 v14, -v7, v13, 1.0
	s_delay_alu instid0(VALU_DEP_1) | instskip(NEXT) | instid1(VALU_DEP_1)
	v_fmac_f32_e32 v13, v14, v13
	v_mul_f32_e32 v14, v15, v13
	s_delay_alu instid0(VALU_DEP_1) | instskip(NEXT) | instid1(VALU_DEP_1)
	v_fma_f32 v17, -v7, v14, v15
	v_fmac_f32_e32 v14, v17, v13
	s_delay_alu instid0(VALU_DEP_1) | instskip(SKIP_1) | instid1(VALU_DEP_1)
	v_fma_f32 v7, -v7, v14, v15
	s_wait_alu 0xfffd
	v_div_fmas_f32 v7, v7, v13, v14
	s_delay_alu instid0(VALU_DEP_1) | instskip(NEXT) | instid1(VALU_DEP_1)
	v_div_fixup_f32 v6, v7, v12, v6
	v_fma_f32 v6, v6, v6, 1.0
	s_delay_alu instid0(VALU_DEP_1) | instskip(SKIP_2) | instid1(VALU_DEP_2)
	v_mul_f32_e32 v7, 0x4f800000, v6
	v_cmp_gt_f32_e32 vcc_lo, 0xf800000, v6
	s_wait_alu 0xfffd
	v_cndmask_b32_e32 v6, v6, v7, vcc_lo
	s_delay_alu instid0(VALU_DEP_1) | instskip(NEXT) | instid1(TRANS32_DEP_1)
	v_sqrt_f32_e32 v7, v6
	v_add_nc_u32_e32 v13, -1, v7
	v_add_nc_u32_e32 v14, 1, v7
	s_delay_alu instid0(VALU_DEP_2) | instskip(NEXT) | instid1(VALU_DEP_2)
	v_fma_f32 v15, -v13, v7, v6
	v_fma_f32 v17, -v14, v7, v6
	s_delay_alu instid0(VALU_DEP_2) | instskip(SKIP_1) | instid1(VALU_DEP_1)
	v_cmp_ge_f32_e64 s2, 0, v15
	s_wait_alu 0xf1ff
	v_cndmask_b32_e64 v7, v7, v13, s2
	s_delay_alu instid0(VALU_DEP_3) | instskip(SKIP_1) | instid1(VALU_DEP_1)
	v_cmp_lt_f32_e64 s2, 0, v17
	s_wait_alu 0xf1ff
	v_cndmask_b32_e64 v7, v7, v14, s2
	s_delay_alu instid0(VALU_DEP_1) | instskip(NEXT) | instid1(VALU_DEP_1)
	v_mul_f32_e32 v13, 0x37800000, v7
	v_cndmask_b32_e32 v7, v7, v13, vcc_lo
	v_cmp_class_f32_e64 vcc_lo, v6, 0x260
	s_wait_alu 0xfffd
	s_delay_alu instid0(VALU_DEP_2) | instskip(NEXT) | instid1(VALU_DEP_1)
	v_cndmask_b32_e32 v6, v7, v6, vcc_lo
	v_mul_f32_e32 v7, v12, v6
.LBB32_32:
	s_wait_alu 0xfffe
	s_or_b32 exec_lo, exec_lo, s6
                                        ; implicit-def: $vgpr6
                                        ; implicit-def: $vgpr12
.LBB32_33:
	s_wait_alu 0xfffe
	s_and_not1_saveexec_b32 s5, s5
	s_cbranch_execz .LBB32_35
; %bb.34:
	v_div_scale_f32 v7, null, v6, v6, v12
	v_div_scale_f32 v15, vcc_lo, v12, v6, v12
	s_delay_alu instid0(VALU_DEP_2) | instskip(NEXT) | instid1(TRANS32_DEP_1)
	v_rcp_f32_e32 v13, v7
	v_fma_f32 v14, -v7, v13, 1.0
	s_delay_alu instid0(VALU_DEP_1) | instskip(NEXT) | instid1(VALU_DEP_1)
	v_fmac_f32_e32 v13, v14, v13
	v_mul_f32_e32 v14, v15, v13
	s_delay_alu instid0(VALU_DEP_1) | instskip(NEXT) | instid1(VALU_DEP_1)
	v_fma_f32 v17, -v7, v14, v15
	v_fmac_f32_e32 v14, v17, v13
	s_delay_alu instid0(VALU_DEP_1) | instskip(SKIP_1) | instid1(VALU_DEP_1)
	v_fma_f32 v7, -v7, v14, v15
	s_wait_alu 0xfffd
	v_div_fmas_f32 v7, v7, v13, v14
	s_delay_alu instid0(VALU_DEP_1) | instskip(NEXT) | instid1(VALU_DEP_1)
	v_div_fixup_f32 v7, v7, v6, v12
	v_fma_f32 v7, v7, v7, 1.0
	s_delay_alu instid0(VALU_DEP_1) | instskip(SKIP_2) | instid1(VALU_DEP_2)
	v_mul_f32_e32 v12, 0x4f800000, v7
	v_cmp_gt_f32_e32 vcc_lo, 0xf800000, v7
	s_wait_alu 0xfffd
	v_cndmask_b32_e32 v7, v7, v12, vcc_lo
	s_delay_alu instid0(VALU_DEP_1) | instskip(NEXT) | instid1(TRANS32_DEP_1)
	v_sqrt_f32_e32 v12, v7
	v_add_nc_u32_e32 v13, -1, v12
	v_add_nc_u32_e32 v14, 1, v12
	s_delay_alu instid0(VALU_DEP_2) | instskip(NEXT) | instid1(VALU_DEP_2)
	v_fma_f32 v15, -v13, v12, v7
	v_fma_f32 v17, -v14, v12, v7
	s_delay_alu instid0(VALU_DEP_2) | instskip(SKIP_1) | instid1(VALU_DEP_1)
	v_cmp_ge_f32_e64 s2, 0, v15
	s_wait_alu 0xf1ff
	v_cndmask_b32_e64 v12, v12, v13, s2
	s_delay_alu instid0(VALU_DEP_3) | instskip(SKIP_1) | instid1(VALU_DEP_1)
	v_cmp_lt_f32_e64 s2, 0, v17
	s_wait_alu 0xf1ff
	v_cndmask_b32_e64 v12, v12, v14, s2
	s_delay_alu instid0(VALU_DEP_1) | instskip(NEXT) | instid1(VALU_DEP_1)
	v_mul_f32_e32 v13, 0x37800000, v12
	v_cndmask_b32_e32 v12, v12, v13, vcc_lo
	v_cmp_class_f32_e64 vcc_lo, v7, 0x260
	s_wait_alu 0xfffd
	s_delay_alu instid0(VALU_DEP_2) | instskip(NEXT) | instid1(VALU_DEP_1)
	v_cndmask_b32_e32 v7, v12, v7, vcc_lo
	v_mul_f32_e32 v7, v6, v7
.LBB32_35:
	s_wait_alu 0xfffe
	s_or_b32 exec_lo, exec_lo, s5
	s_delay_alu instid0(VALU_DEP_1)
	v_cvt_f64_f32_e32 v[6:7], v7
	v_cmp_ne_u32_e32 vcc_lo, 1, v16
	v_cmp_eq_u32_e64 s2, 0, v0
	s_mov_b32 s5, -1
	s_cbranch_vccnz .LBB32_39
; %bb.36:
	v_cvt_f64_f32_e32 v[12:13], s29
	s_cmp_eq_u64 s[20:21], 8
	s_cselect_b32 vcc_lo, -1, 0
	s_wait_alu 0xfffe
	s_delay_alu instid0(VALU_DEP_1) | instskip(NEXT) | instid1(VALU_DEP_1)
	v_dual_cndmask_b32 v4, v13, v4 :: v_dual_cndmask_b32 v3, v12, v3
	v_cmp_ge_f64_e32 vcc_lo, v[3:4], v[6:7]
	s_and_b32 s6, s2, vcc_lo
	s_wait_alu 0xfffe
	s_and_saveexec_b32 s5, s6
	s_cbranch_execz .LBB32_38
; %bb.37:
	v_dual_mov_b32 v3, s3 :: v_dual_mov_b32 v4, s22
	global_store_b64 v[10:11], v[3:4], off
.LBB32_38:
	s_wait_alu 0xfffe
	s_or_b32 exec_lo, exec_lo, s5
	s_mov_b32 s5, 0
.LBB32_39:
	s_wait_alu 0xfffe
	s_and_not1_b32 vcc_lo, exec_lo, s5
	s_wait_alu 0xfffe
	s_cbranch_vccnz .LBB32_50
; %bb.40:
	s_load_b64 s[0:1], s[0:1], 0x48
	v_add_nc_u32_e32 v3, s28, v5
	s_wait_kmcnt 0x0
	v_cmp_ge_f64_e32 vcc_lo, s[0:1], v[6:7]
	s_and_b32 s1, s2, vcc_lo
	s_wait_alu 0xfffe
	s_and_saveexec_b32 s0, s1
	s_cbranch_execz .LBB32_45
; %bb.41:
	s_mov_b32 s3, exec_lo
	s_brev_b32 s1, -2
.LBB32_42:                              ; =>This Inner Loop Header: Depth=1
	s_wait_alu 0xfffe
	s_ctz_i32_b32 s5, s3
	s_wait_alu 0xfffe
	v_readlane_b32 s6, v3, s5
	s_lshl_b32 s5, 1, s5
	s_wait_alu 0xfffe
	s_and_not1_b32 s3, s3, s5
	s_min_i32 s1, s1, s6
	s_wait_alu 0xfffe
	s_cmp_lg_u32 s3, 0
	s_cbranch_scc1 .LBB32_42
; %bb.43:
	v_mbcnt_lo_u32_b32 v4, exec_lo, 0
	s_mov_b32 s3, exec_lo
	s_delay_alu instid0(VALU_DEP_1)
	v_cmpx_eq_u32_e32 0, v4
	s_wait_alu 0xfffe
	s_xor_b32 s3, exec_lo, s3
	s_cbranch_execz .LBB32_45
; %bb.44:
	v_dual_mov_b32 v4, 0 :: v_dual_mov_b32 v5, s1
	global_atomic_min_i32 v4, v5, s[18:19] scope:SCOPE_DEV
.LBB32_45:
	s_wait_alu 0xfffe
	s_or_b32 exec_lo, exec_lo, s0
	v_cmp_eq_f32_e32 vcc_lo, 0, v8
	v_cmp_eq_f32_e64 s0, 0, v9
	s_and_b32 s0, vcc_lo, s0
	s_wait_alu 0xfffe
	s_and_b32 s0, s2, s0
	s_wait_alu 0xfffe
	s_and_b32 exec_lo, exec_lo, s0
	s_cbranch_execz .LBB32_50
; %bb.46:
	s_mov_b32 s1, exec_lo
	s_brev_b32 s0, -2
.LBB32_47:                              ; =>This Inner Loop Header: Depth=1
	s_wait_alu 0xfffe
	s_ctz_i32_b32 s2, s1
	s_wait_alu 0xfffe
	v_readlane_b32 s3, v3, s2
	s_lshl_b32 s2, 1, s2
	s_wait_alu 0xfffe
	s_and_not1_b32 s1, s1, s2
	s_min_i32 s0, s0, s3
	s_wait_alu 0xfffe
	s_cmp_lg_u32 s1, 0
	s_cbranch_scc1 .LBB32_47
; %bb.48:
	v_mbcnt_lo_u32_b32 v3, exec_lo, 0
	s_mov_b32 s1, exec_lo
	s_delay_alu instid0(VALU_DEP_1)
	v_cmpx_eq_u32_e32 0, v3
	s_wait_alu 0xfffe
	s_xor_b32 s1, exec_lo, s1
	s_cbranch_execz .LBB32_50
; %bb.49:
	v_dual_mov_b32 v3, 0 :: v_dual_mov_b32 v4, s0
	global_atomic_min_i32 v3, v4, s[16:17] scope:SCOPE_DEV
.LBB32_50:
	s_wait_alu 0xfffe
	s_or_b32 exec_lo, exec_lo, s4
	v_cmp_eq_u32_e32 vcc_lo, 0, v0
	s_wait_loadcnt 0x0
	s_wait_storecnt 0x0
	global_inv scope:SCOPE_DEV
	s_and_b32 exec_lo, exec_lo, vcc_lo
	s_cbranch_execz .LBB32_52
; %bb.51:
	v_add_co_u32 v0, vcc_lo, s12, v1
	s_wait_alu 0xfffd
	v_add_co_ci_u32_e64 v1, null, s13, v2, vcc_lo
	v_mov_b32_e32 v2, 1
	s_wait_loadcnt 0x0
	global_store_b32 v[0:1], v2, off scope:SCOPE_DEV
.LBB32_52:
	s_endpgm
	.section	.rodata,"a",@progbits
	.p2align	6, 0x0
	.amdhsa_kernel _ZN9rocsparseL17csrilu0_binsearchILj256ELj32ELb0E21rocsparse_complex_numIfEEEviPKiS4_PT2_S4_PiS4_S7_S7_d21rocsparse_index_base_imNS_24const_host_device_scalarIfEENS9_IdEENS9_IS5_EEb
		.amdhsa_group_segment_fixed_size 0
		.amdhsa_private_segment_fixed_size 0
		.amdhsa_kernarg_size 124
		.amdhsa_user_sgpr_count 2
		.amdhsa_user_sgpr_dispatch_ptr 0
		.amdhsa_user_sgpr_queue_ptr 0
		.amdhsa_user_sgpr_kernarg_segment_ptr 1
		.amdhsa_user_sgpr_dispatch_id 0
		.amdhsa_user_sgpr_private_segment_size 0
		.amdhsa_wavefront_size32 1
		.amdhsa_uses_dynamic_stack 0
		.amdhsa_enable_private_segment 0
		.amdhsa_system_sgpr_workgroup_id_x 1
		.amdhsa_system_sgpr_workgroup_id_y 0
		.amdhsa_system_sgpr_workgroup_id_z 0
		.amdhsa_system_sgpr_workgroup_info 0
		.amdhsa_system_vgpr_workitem_id 0
		.amdhsa_next_free_vgpr 25
		.amdhsa_next_free_sgpr 30
		.amdhsa_reserve_vcc 1
		.amdhsa_float_round_mode_32 0
		.amdhsa_float_round_mode_16_64 0
		.amdhsa_float_denorm_mode_32 3
		.amdhsa_float_denorm_mode_16_64 3
		.amdhsa_fp16_overflow 0
		.amdhsa_workgroup_processor_mode 1
		.amdhsa_memory_ordered 1
		.amdhsa_forward_progress 1
		.amdhsa_inst_pref_size 22
		.amdhsa_round_robin_scheduling 0
		.amdhsa_exception_fp_ieee_invalid_op 0
		.amdhsa_exception_fp_denorm_src 0
		.amdhsa_exception_fp_ieee_div_zero 0
		.amdhsa_exception_fp_ieee_overflow 0
		.amdhsa_exception_fp_ieee_underflow 0
		.amdhsa_exception_fp_ieee_inexact 0
		.amdhsa_exception_int_div_zero 0
	.end_amdhsa_kernel
	.section	.text._ZN9rocsparseL17csrilu0_binsearchILj256ELj32ELb0E21rocsparse_complex_numIfEEEviPKiS4_PT2_S4_PiS4_S7_S7_d21rocsparse_index_base_imNS_24const_host_device_scalarIfEENS9_IdEENS9_IS5_EEb,"axG",@progbits,_ZN9rocsparseL17csrilu0_binsearchILj256ELj32ELb0E21rocsparse_complex_numIfEEEviPKiS4_PT2_S4_PiS4_S7_S7_d21rocsparse_index_base_imNS_24const_host_device_scalarIfEENS9_IdEENS9_IS5_EEb,comdat
.Lfunc_end32:
	.size	_ZN9rocsparseL17csrilu0_binsearchILj256ELj32ELb0E21rocsparse_complex_numIfEEEviPKiS4_PT2_S4_PiS4_S7_S7_d21rocsparse_index_base_imNS_24const_host_device_scalarIfEENS9_IdEENS9_IS5_EEb, .Lfunc_end32-_ZN9rocsparseL17csrilu0_binsearchILj256ELj32ELb0E21rocsparse_complex_numIfEEEviPKiS4_PT2_S4_PiS4_S7_S7_d21rocsparse_index_base_imNS_24const_host_device_scalarIfEENS9_IdEENS9_IS5_EEb
                                        ; -- End function
	.set _ZN9rocsparseL17csrilu0_binsearchILj256ELj32ELb0E21rocsparse_complex_numIfEEEviPKiS4_PT2_S4_PiS4_S7_S7_d21rocsparse_index_base_imNS_24const_host_device_scalarIfEENS9_IdEENS9_IS5_EEb.num_vgpr, 25
	.set _ZN9rocsparseL17csrilu0_binsearchILj256ELj32ELb0E21rocsparse_complex_numIfEEEviPKiS4_PT2_S4_PiS4_S7_S7_d21rocsparse_index_base_imNS_24const_host_device_scalarIfEENS9_IdEENS9_IS5_EEb.num_agpr, 0
	.set _ZN9rocsparseL17csrilu0_binsearchILj256ELj32ELb0E21rocsparse_complex_numIfEEEviPKiS4_PT2_S4_PiS4_S7_S7_d21rocsparse_index_base_imNS_24const_host_device_scalarIfEENS9_IdEENS9_IS5_EEb.numbered_sgpr, 30
	.set _ZN9rocsparseL17csrilu0_binsearchILj256ELj32ELb0E21rocsparse_complex_numIfEEEviPKiS4_PT2_S4_PiS4_S7_S7_d21rocsparse_index_base_imNS_24const_host_device_scalarIfEENS9_IdEENS9_IS5_EEb.num_named_barrier, 0
	.set _ZN9rocsparseL17csrilu0_binsearchILj256ELj32ELb0E21rocsparse_complex_numIfEEEviPKiS4_PT2_S4_PiS4_S7_S7_d21rocsparse_index_base_imNS_24const_host_device_scalarIfEENS9_IdEENS9_IS5_EEb.private_seg_size, 0
	.set _ZN9rocsparseL17csrilu0_binsearchILj256ELj32ELb0E21rocsparse_complex_numIfEEEviPKiS4_PT2_S4_PiS4_S7_S7_d21rocsparse_index_base_imNS_24const_host_device_scalarIfEENS9_IdEENS9_IS5_EEb.uses_vcc, 1
	.set _ZN9rocsparseL17csrilu0_binsearchILj256ELj32ELb0E21rocsparse_complex_numIfEEEviPKiS4_PT2_S4_PiS4_S7_S7_d21rocsparse_index_base_imNS_24const_host_device_scalarIfEENS9_IdEENS9_IS5_EEb.uses_flat_scratch, 0
	.set _ZN9rocsparseL17csrilu0_binsearchILj256ELj32ELb0E21rocsparse_complex_numIfEEEviPKiS4_PT2_S4_PiS4_S7_S7_d21rocsparse_index_base_imNS_24const_host_device_scalarIfEENS9_IdEENS9_IS5_EEb.has_dyn_sized_stack, 0
	.set _ZN9rocsparseL17csrilu0_binsearchILj256ELj32ELb0E21rocsparse_complex_numIfEEEviPKiS4_PT2_S4_PiS4_S7_S7_d21rocsparse_index_base_imNS_24const_host_device_scalarIfEENS9_IdEENS9_IS5_EEb.has_recursion, 0
	.set _ZN9rocsparseL17csrilu0_binsearchILj256ELj32ELb0E21rocsparse_complex_numIfEEEviPKiS4_PT2_S4_PiS4_S7_S7_d21rocsparse_index_base_imNS_24const_host_device_scalarIfEENS9_IdEENS9_IS5_EEb.has_indirect_call, 0
	.section	.AMDGPU.csdata,"",@progbits
; Kernel info:
; codeLenInByte = 2752
; TotalNumSgprs: 32
; NumVgprs: 25
; ScratchSize: 0
; MemoryBound: 0
; FloatMode: 240
; IeeeMode: 1
; LDSByteSize: 0 bytes/workgroup (compile time only)
; SGPRBlocks: 0
; VGPRBlocks: 3
; NumSGPRsForWavesPerEU: 32
; NumVGPRsForWavesPerEU: 25
; Occupancy: 16
; WaveLimiterHint : 1
; COMPUTE_PGM_RSRC2:SCRATCH_EN: 0
; COMPUTE_PGM_RSRC2:USER_SGPR: 2
; COMPUTE_PGM_RSRC2:TRAP_HANDLER: 0
; COMPUTE_PGM_RSRC2:TGID_X_EN: 1
; COMPUTE_PGM_RSRC2:TGID_Y_EN: 0
; COMPUTE_PGM_RSRC2:TGID_Z_EN: 0
; COMPUTE_PGM_RSRC2:TIDIG_COMP_CNT: 0
	.section	.text._ZN9rocsparseL12csrilu0_hashILj256ELj64ELj1E21rocsparse_complex_numIfEEEviPKiS4_PT2_S4_PiS4_S7_S7_d21rocsparse_index_base_imNS_24const_host_device_scalarIfEENS9_IdEENS9_IS5_EEb,"axG",@progbits,_ZN9rocsparseL12csrilu0_hashILj256ELj64ELj1E21rocsparse_complex_numIfEEEviPKiS4_PT2_S4_PiS4_S7_S7_d21rocsparse_index_base_imNS_24const_host_device_scalarIfEENS9_IdEENS9_IS5_EEb,comdat
	.globl	_ZN9rocsparseL12csrilu0_hashILj256ELj64ELj1E21rocsparse_complex_numIfEEEviPKiS4_PT2_S4_PiS4_S7_S7_d21rocsparse_index_base_imNS_24const_host_device_scalarIfEENS9_IdEENS9_IS5_EEb ; -- Begin function _ZN9rocsparseL12csrilu0_hashILj256ELj64ELj1E21rocsparse_complex_numIfEEEviPKiS4_PT2_S4_PiS4_S7_S7_d21rocsparse_index_base_imNS_24const_host_device_scalarIfEENS9_IdEENS9_IS5_EEb
	.p2align	8
	.type	_ZN9rocsparseL12csrilu0_hashILj256ELj64ELj1E21rocsparse_complex_numIfEEEviPKiS4_PT2_S4_PiS4_S7_S7_d21rocsparse_index_base_imNS_24const_host_device_scalarIfEENS9_IdEENS9_IS5_EEb,@function
_ZN9rocsparseL12csrilu0_hashILj256ELj64ELj1E21rocsparse_complex_numIfEEEviPKiS4_PT2_S4_PiS4_S7_S7_d21rocsparse_index_base_imNS_24const_host_device_scalarIfEENS9_IdEENS9_IS5_EEb: ; @_ZN9rocsparseL12csrilu0_hashILj256ELj64ELj1E21rocsparse_complex_numIfEEEviPKiS4_PT2_S4_PiS4_S7_S7_d21rocsparse_index_base_imNS_24const_host_device_scalarIfEENS9_IdEENS9_IS5_EEb
; %bb.0:
	s_clause 0x2
	s_load_b32 s2, s[0:1], 0x78
	s_load_b64 s[28:29], s[0:1], 0x50
	s_load_b256 s[20:27], s[0:1], 0x58
	s_wait_kmcnt 0x0
	s_bitcmp1_b32 s2, 0
	s_cselect_b32 s4, -1, 0
	s_cmp_eq_u32 s29, 0
	s_cselect_b32 s2, -1, 0
	s_cmp_lg_u32 s29, 0
	s_cselect_b32 s5, -1, 0
	s_or_b32 s7, s2, s4
	s_delay_alu instid0(SALU_CYCLE_1)
	s_xor_b32 s6, s7, -1
	s_and_b32 s2, s2, exec_lo
	s_cselect_b32 s3, 0, s25
	s_cselect_b32 s2, 0, s24
	;; [unrolled: 1-line block ×3, first 2 shown]
	s_and_b32 vcc_lo, exec_lo, s7
	s_cbranch_vccnz .LBB33_2
; %bb.1:
	s_load_b32 s29, s[22:23], 0x0
	s_mov_b64 s[2:3], s[24:25]
.LBB33_2:
	s_delay_alu instid0(SALU_CYCLE_1)
	v_dual_mov_b32 v2, s2 :: v_dual_mov_b32 v3, s3
	s_and_not1_b32 vcc_lo, exec_lo, s6
	s_cbranch_vccnz .LBB33_4
; %bb.3:
	v_dual_mov_b32 v1, s24 :: v_dual_mov_b32 v2, s25
	flat_load_b64 v[2:3], v[1:2]
.LBB33_4:
	v_cndmask_b32_e64 v16, 0, 1, s5
	s_mov_b32 s3, 0
	s_and_not1_b32 vcc_lo, exec_lo, s5
	s_mov_b32 s22, 0
	s_cbranch_vccnz .LBB33_10
; %bb.5:
	s_xor_b32 s2, s4, -1
	s_mov_b32 s3, s26
	s_wait_alu 0xfffe
	v_cndmask_b32_e64 v1, 0, 1, s2
	s_and_not1_b32 vcc_lo, exec_lo, s2
	s_cbranch_vccnz .LBB33_7
; %bb.6:
	s_load_b32 s3, s[26:27], 0x0
.LBB33_7:
	s_delay_alu instid0(VALU_DEP_1)
	v_cmp_ne_u32_e32 vcc_lo, 1, v1
	s_cbranch_vccnz .LBB33_9
; %bb.8:
	s_load_b32 s27, s[26:27], 0x4
.LBB33_9:
	s_wait_kmcnt 0x0
	s_mov_b32 s22, s27
.LBB33_10:
	s_load_b32 s2, s[0:1], 0x0
	v_and_b32_e32 v8, 0xc0, v0
	v_lshrrev_b32_e32 v1, 6, v0
	s_lshl_b32 s4, ttmp9, 2
	v_dual_mov_b32 v4, -1 :: v_dual_and_b32 v15, 63, v0
	s_delay_alu instid0(VALU_DEP_3) | instskip(SKIP_2) | instid1(VALU_DEP_2)
	v_lshl_or_b32 v17, v8, 2, 0x400
	s_wait_alu 0xfffe
	v_and_or_b32 v0, 0x3fffffc, s4, v1
	v_lshl_or_b32 v1, v15, 2, v17
	ds_store_b32 v1, v4
	s_wait_loadcnt_dscnt 0x0
	global_inv scope:SCOPE_SE
	s_wait_kmcnt 0x0
	v_cmp_gt_i32_e32 vcc_lo, s2, v0
	s_and_saveexec_b32 s2, vcc_lo
	s_cbranch_execz .LBB33_88
; %bb.11:
	s_load_b512 s[4:19], s[0:1], 0x8
	v_lshlrev_b32_e32 v0, 2, v0
	v_lshlrev_b32_e32 v18, 2, v8
	s_mov_b32 s2, exec_lo
	s_wait_kmcnt 0x0
	global_load_b32 v4, v0, s[14:15]
	s_wait_loadcnt 0x0
	v_ashrrev_i32_e32 v5, 31, v4
	s_delay_alu instid0(VALU_DEP_1) | instskip(NEXT) | instid1(VALU_DEP_1)
	v_lshlrev_b64_e32 v[0:1], 2, v[4:5]
	v_add_co_u32 v5, vcc_lo, s4, v0
	s_delay_alu instid0(VALU_DEP_1)
	v_add_co_ci_u32_e64 v6, null, s5, v1, vcc_lo
	v_add_co_u32 v9, vcc_lo, s10, v0
	s_wait_alu 0xfffd
	v_add_co_ci_u32_e64 v10, null, s11, v1, vcc_lo
	global_load_b64 v[6:7], v[5:6], off
	global_load_b32 v5, v[9:10], off
	s_wait_loadcnt 0x1
	v_subrev_nc_u32_e32 v6, s28, v6
	v_subrev_nc_u32_e32 v9, s28, v7
	s_delay_alu instid0(VALU_DEP_2) | instskip(NEXT) | instid1(VALU_DEP_1)
	v_add_nc_u32_e32 v7, v6, v15
	v_cmpx_lt_i32_e64 v7, v9
	s_cbranch_execz .LBB33_34
; %bb.12:
	v_mov_b32_e32 v10, -1
	s_mov_b32 s14, 0
	s_branch .LBB33_14
.LBB33_13:                              ;   in Loop: Header=BB33_14 Depth=1
	s_or_b32 exec_lo, exec_lo, s15
	v_add_nc_u32_e32 v7, 64, v7
	s_delay_alu instid0(VALU_DEP_1) | instskip(SKIP_1) | instid1(SALU_CYCLE_1)
	v_cmp_ge_i32_e32 vcc_lo, v7, v9
	s_or_b32 s14, vcc_lo, s14
	s_and_not1_b32 exec_lo, exec_lo, s14
	s_cbranch_execz .LBB33_34
.LBB33_14:                              ; =>This Loop Header: Depth=1
                                        ;     Child Loop BB33_23 Depth 2
	v_ashrrev_i32_e32 v8, 31, v7
	s_mov_b32 s15, 0
                                        ; implicit-def: $sgpr23
                                        ; implicit-def: $sgpr24
                                        ; implicit-def: $sgpr25
	s_delay_alu instid0(VALU_DEP_1) | instskip(NEXT) | instid1(VALU_DEP_1)
	v_lshlrev_b64_e32 v[11:12], 2, v[7:8]
	v_add_co_u32 v11, vcc_lo, s6, v11
	s_wait_alu 0xfffd
	s_delay_alu instid0(VALU_DEP_2)
	v_add_co_ci_u32_e64 v12, null, s7, v12, vcc_lo
	global_load_b32 v8, v[11:12], off
	v_mov_b32_e32 v11, 64
	s_wait_loadcnt 0x0
	v_mul_lo_u32 v13, v8, 39
	s_branch .LBB33_23
.LBB33_15:                              ;   in Loop: Header=BB33_23 Depth=2
	s_or_b32 exec_lo, exec_lo, s38
	s_delay_alu instid0(SALU_CYCLE_1)
	s_or_not1_b32 s36, s36, exec_lo
	s_or_not1_b32 s37, s37, exec_lo
.LBB33_16:                              ;   in Loop: Header=BB33_23 Depth=2
	s_or_b32 exec_lo, exec_lo, s35
	s_delay_alu instid0(SALU_CYCLE_1)
	s_and_b32 s36, s36, exec_lo
	s_or_not1_b32 s35, s37, exec_lo
.LBB33_17:                              ;   in Loop: Header=BB33_23 Depth=2
	s_or_b32 exec_lo, exec_lo, s34
	s_delay_alu instid0(SALU_CYCLE_1)
	s_or_not1_b32 s34, s36, exec_lo
	s_or_not1_b32 s35, s35, exec_lo
.LBB33_18:                              ;   in Loop: Header=BB33_23 Depth=2
	s_or_b32 exec_lo, exec_lo, s33
	s_delay_alu instid0(SALU_CYCLE_1)
	s_and_b32 s34, s34, exec_lo
	s_or_not1_b32 s33, s35, exec_lo
.LBB33_19:                              ;   in Loop: Header=BB33_23 Depth=2
	s_or_b32 exec_lo, exec_lo, s31
	s_delay_alu instid0(SALU_CYCLE_1)
	s_or_not1_b32 s31, s34, exec_lo
	s_or_not1_b32 s33, s33, exec_lo
.LBB33_20:                              ;   in Loop: Header=BB33_23 Depth=2
	s_or_b32 exec_lo, exec_lo, s30
	s_delay_alu instid0(SALU_CYCLE_1)
	s_and_b32 s31, s31, exec_lo
	s_or_not1_b32 s30, s33, exec_lo
.LBB33_21:                              ;   in Loop: Header=BB33_23 Depth=2
	s_or_b32 exec_lo, exec_lo, s27
	s_wait_alu 0xfffe
	s_and_not1_b32 s25, s25, exec_lo
	s_and_b32 s27, s31, exec_lo
	s_and_not1_b32 s24, s24, exec_lo
	s_and_b32 s30, s30, exec_lo
	s_wait_alu 0xfffe
	s_or_b32 s25, s25, s27
	s_or_b32 s24, s24, s30
.LBB33_22:                              ;   in Loop: Header=BB33_23 Depth=2
	s_or_b32 exec_lo, exec_lo, s26
	s_wait_alu 0xfffe
	s_and_b32 s26, exec_lo, s24
	s_delay_alu instid0(SALU_CYCLE_1) | instskip(SKIP_2) | instid1(SALU_CYCLE_1)
	s_or_b32 s15, s26, s15
	s_and_not1_b32 s23, s23, exec_lo
	s_and_b32 s26, s25, exec_lo
	s_or_b32 s23, s23, s26
	s_and_not1_b32 exec_lo, exec_lo, s15
	s_cbranch_execz .LBB33_32
.LBB33_23:                              ;   Parent Loop BB33_14 Depth=1
                                        ; =>  This Inner Loop Header: Depth=2
	s_delay_alu instid0(VALU_DEP_1) | instskip(SKIP_3) | instid1(VALU_DEP_1)
	v_and_b32_e32 v12, 63, v13
	s_or_b32 s25, s25, exec_lo
	s_or_b32 s24, s24, exec_lo
	s_mov_b32 s26, exec_lo
	v_lshl_add_u32 v14, v12, 2, v17
	ds_load_b32 v19, v14
	s_wait_dscnt 0x0
	v_cmpx_ne_u32_e64 v19, v8
	s_cbranch_execz .LBB33_22
; %bb.24:                               ;   in Loop: Header=BB33_23 Depth=2
	ds_cmpstore_rtn_b32 v14, v14, v8, v10
	s_mov_b32 s30, -1
	s_mov_b32 s31, 0
	s_mov_b32 s27, exec_lo
	s_wait_dscnt 0x0
	v_cmpx_ne_u32_e32 -1, v14
	s_cbranch_execz .LBB33_21
; %bb.25:                               ;   in Loop: Header=BB33_23 Depth=2
	v_add_nc_u32_e32 v12, 1, v13
	s_mov_b32 s33, -1
	s_mov_b32 s31, -1
	s_mov_b32 s30, exec_lo
	s_delay_alu instid0(VALU_DEP_1) | instskip(NEXT) | instid1(VALU_DEP_1)
	v_and_b32_e32 v12, 63, v12
	v_lshl_add_u32 v14, v12, 2, v17
	ds_load_b32 v19, v14
	s_wait_dscnt 0x0
	v_cmpx_ne_u32_e64 v19, v8
	s_cbranch_execz .LBB33_20
; %bb.26:                               ;   in Loop: Header=BB33_23 Depth=2
	ds_cmpstore_rtn_b32 v14, v14, v8, v10
	s_mov_b32 s34, 0
	s_mov_b32 s31, exec_lo
	s_wait_dscnt 0x0
	v_cmpx_ne_u32_e32 -1, v14
	s_cbranch_execz .LBB33_19
; %bb.27:                               ;   in Loop: Header=BB33_23 Depth=2
	v_add_nc_u32_e32 v12, 2, v13
	s_mov_b32 s35, -1
	s_mov_b32 s34, -1
	s_mov_b32 s33, exec_lo
	s_delay_alu instid0(VALU_DEP_1) | instskip(NEXT) | instid1(VALU_DEP_1)
	v_and_b32_e32 v12, 63, v12
	v_lshl_add_u32 v14, v12, 2, v17
	ds_load_b32 v19, v14
	s_wait_dscnt 0x0
	v_cmpx_ne_u32_e64 v19, v8
	s_cbranch_execz .LBB33_18
; %bb.28:                               ;   in Loop: Header=BB33_23 Depth=2
	ds_cmpstore_rtn_b32 v14, v14, v8, v10
	s_mov_b32 s36, 0
	s_mov_b32 s34, exec_lo
	s_wait_dscnt 0x0
	v_cmpx_ne_u32_e32 -1, v14
	s_cbranch_execz .LBB33_17
; %bb.29:                               ;   in Loop: Header=BB33_23 Depth=2
	v_add_nc_u32_e32 v12, 3, v13
	s_mov_b32 s37, -1
	s_mov_b32 s36, -1
	s_delay_alu instid0(VALU_DEP_1) | instskip(NEXT) | instid1(VALU_DEP_1)
	v_and_b32_e32 v12, 63, v12
	v_lshl_add_u32 v14, v12, 2, v17
	ds_load_b32 v13, v14
	s_wait_dscnt 0x0
	v_cmp_ne_u32_e32 vcc_lo, v13, v8
                                        ; implicit-def: $vgpr13
	s_and_saveexec_b32 s35, vcc_lo
	s_cbranch_execz .LBB33_16
; %bb.30:                               ;   in Loop: Header=BB33_23 Depth=2
	ds_cmpstore_rtn_b32 v13, v14, v8, v10
	s_mov_b32 s36, 0
	s_wait_dscnt 0x0
	v_cmp_ne_u32_e32 vcc_lo, -1, v13
                                        ; implicit-def: $vgpr13
	s_and_saveexec_b32 s38, vcc_lo
	s_cbranch_execz .LBB33_15
; %bb.31:                               ;   in Loop: Header=BB33_23 Depth=2
	v_add_nc_u32_e32 v11, -4, v11
	v_add_nc_u32_e32 v13, 1, v12
	s_mov_b32 s36, exec_lo
	s_delay_alu instid0(VALU_DEP_2)
	v_cmp_eq_u32_e32 vcc_lo, 0, v11
	s_or_not1_b32 s37, vcc_lo, exec_lo
	s_branch .LBB33_15
.LBB33_32:                              ;   in Loop: Header=BB33_14 Depth=1
	s_or_b32 exec_lo, exec_lo, s15
	s_xor_b32 s15, s23, -1
	s_delay_alu instid0(SALU_CYCLE_1) | instskip(NEXT) | instid1(SALU_CYCLE_1)
	s_and_saveexec_b32 s23, s15
	s_xor_b32 s15, exec_lo, s23
	s_cbranch_execz .LBB33_13
; %bb.33:                               ;   in Loop: Header=BB33_14 Depth=1
	v_lshl_add_u32 v8, v12, 2, v18
	ds_store_b32 v8, v7
	s_branch .LBB33_13
.LBB33_34:
	s_wait_alu 0xfffe
	s_or_b32 exec_lo, exec_lo, s2
	s_delay_alu instid0(SALU_CYCLE_1)
	s_mov_b32 s14, exec_lo
	s_wait_loadcnt_dscnt 0x0
	global_inv scope:SCOPE_SE
	v_cmpx_lt_i32_e64 v6, v5
	s_cbranch_execz .LBB33_64
; %bb.35:
	v_add_nc_u32_e32 v19, 1, v15
	s_mov_b32 s15, 0
	s_branch .LBB33_38
.LBB33_36:                              ;   in Loop: Header=BB33_38 Depth=1
	s_or_b32 exec_lo, exec_lo, s23
	v_add_nc_u32_e32 v6, 1, v6
	s_delay_alu instid0(VALU_DEP_1)
	v_cmp_ge_i32_e32 vcc_lo, v6, v5
	s_or_not1_b32 s23, vcc_lo, exec_lo
.LBB33_37:                              ;   in Loop: Header=BB33_38 Depth=1
	s_wait_alu 0xfffe
	s_or_b32 exec_lo, exec_lo, s2
	s_delay_alu instid0(SALU_CYCLE_1) | instskip(SKIP_2) | instid1(SALU_CYCLE_1)
	s_and_b32 s2, exec_lo, s23
	s_wait_alu 0xfffe
	s_or_b32 s15, s2, s15
	s_and_not1_b32 exec_lo, exec_lo, s15
	s_cbranch_execz .LBB33_64
.LBB33_38:                              ; =>This Loop Header: Depth=1
                                        ;     Child Loop BB33_39 Depth 2
                                        ;     Child Loop BB33_44 Depth 2
                                        ;       Child Loop BB33_53 Depth 3
	v_ashrrev_i32_e32 v7, 31, v6
	s_mov_b32 s2, 0
	s_delay_alu instid0(VALU_DEP_1) | instskip(SKIP_1) | instid1(VALU_DEP_2)
	v_lshlrev_b64_e32 v[8:9], 2, v[6:7]
	v_lshlrev_b64_e32 v[11:12], 3, v[6:7]
	v_add_co_u32 v8, vcc_lo, s6, v8
	s_wait_alu 0xfffd
	s_delay_alu instid0(VALU_DEP_3) | instskip(NEXT) | instid1(VALU_DEP_3)
	v_add_co_ci_u32_e64 v9, null, s7, v9, vcc_lo
	v_add_co_u32 v11, vcc_lo, s8, v11
	s_wait_alu 0xfffd
	v_add_co_ci_u32_e64 v12, null, s9, v12, vcc_lo
	global_load_b32 v8, v[8:9], off
	s_wait_loadcnt 0x0
	v_subrev_nc_u32_e32 v8, s28, v8
	s_delay_alu instid0(VALU_DEP_1) | instskip(NEXT) | instid1(VALU_DEP_1)
	v_ashrrev_i32_e32 v9, 31, v8
	v_lshlrev_b64_e32 v[9:10], 2, v[8:9]
	s_delay_alu instid0(VALU_DEP_1) | instskip(SKIP_1) | instid1(VALU_DEP_2)
	v_add_co_u32 v13, vcc_lo, s4, v9
	s_wait_alu 0xfffd
	v_add_co_ci_u32_e64 v14, null, s5, v10, vcc_lo
	v_add_co_u32 v20, vcc_lo, s10, v9
	s_wait_alu 0xfffd
	v_add_co_ci_u32_e64 v21, null, s11, v10, vcc_lo
	global_load_b64 v[7:8], v[11:12], off
	global_load_b32 v13, v[13:14], off offset:4
	global_load_b32 v14, v[20:21], off
	v_add_co_u32 v9, vcc_lo, s12, v9
	s_wait_alu 0xfffd
	v_add_co_ci_u32_e64 v10, null, s13, v10, vcc_lo
.LBB33_39:                              ;   Parent Loop BB33_38 Depth=1
                                        ; =>  This Inner Loop Header: Depth=2
	global_load_b32 v20, v[9:10], off scope:SCOPE_DEV
	s_wait_loadcnt 0x0
	v_cmp_ne_u32_e32 vcc_lo, 0, v20
	s_wait_alu 0xfffe
	s_or_b32 s2, vcc_lo, s2
	s_wait_alu 0xfffe
	s_and_not1_b32 exec_lo, exec_lo, s2
	s_cbranch_execnz .LBB33_39
; %bb.40:                               ;   in Loop: Header=BB33_38 Depth=1
	s_or_b32 exec_lo, exec_lo, s2
	v_subrev_nc_u32_e32 v20, s28, v13
	v_cmp_eq_u32_e32 vcc_lo, -1, v14
	global_inv scope:SCOPE_DEV
	s_mov_b32 s23, -1
	v_add_nc_u32_e32 v9, -1, v20
	s_wait_alu 0xfffd
	s_delay_alu instid0(VALU_DEP_1) | instskip(NEXT) | instid1(VALU_DEP_1)
	v_cndmask_b32_e32 v9, v14, v9, vcc_lo
	v_ashrrev_i32_e32 v10, 31, v9
	s_delay_alu instid0(VALU_DEP_1) | instskip(NEXT) | instid1(VALU_DEP_1)
	v_lshlrev_b64_e32 v[13:14], 3, v[9:10]
	v_add_co_u32 v13, vcc_lo, s8, v13
	s_wait_alu 0xfffd
	s_delay_alu instid0(VALU_DEP_2)
	v_add_co_ci_u32_e64 v14, null, s9, v14, vcc_lo
	global_load_b64 v[13:14], v[13:14], off
	s_wait_loadcnt 0x0
	v_cmp_neq_f32_e32 vcc_lo, 0, v13
	v_cmp_neq_f32_e64 s2, 0, v14
	s_or_b32 s24, vcc_lo, s2
	s_wait_alu 0xfffe
	s_and_saveexec_b32 s2, s24
	s_cbranch_execz .LBB33_37
; %bb.41:                               ;   in Loop: Header=BB33_38 Depth=1
	v_mul_f32_e32 v10, v14, v14
	s_mov_b32 s23, exec_lo
	s_delay_alu instid0(VALU_DEP_1) | instskip(NEXT) | instid1(VALU_DEP_1)
	v_fmac_f32_e32 v10, v13, v13
	v_div_scale_f32 v21, null, v10, v10, 1.0
	v_div_scale_f32 v24, vcc_lo, 1.0, v10, 1.0
	s_delay_alu instid0(VALU_DEP_2) | instskip(NEXT) | instid1(TRANS32_DEP_1)
	v_rcp_f32_e32 v22, v21
	v_fma_f32 v23, -v21, v22, 1.0
	s_delay_alu instid0(VALU_DEP_1) | instskip(NEXT) | instid1(VALU_DEP_1)
	v_fmac_f32_e32 v22, v23, v22
	v_mul_f32_e32 v23, v24, v22
	s_delay_alu instid0(VALU_DEP_1) | instskip(NEXT) | instid1(VALU_DEP_1)
	v_fma_f32 v25, -v21, v23, v24
	v_fmac_f32_e32 v23, v25, v22
	s_delay_alu instid0(VALU_DEP_1) | instskip(SKIP_2) | instid1(VALU_DEP_2)
	v_fma_f32 v21, -v21, v23, v24
	v_mul_f32_e32 v24, v8, v14
	v_mul_f32_e64 v14, v14, -v7
	v_fmac_f32_e32 v24, v7, v13
	s_wait_alu 0xfffd
	v_div_fmas_f32 v21, v21, v22, v23
	s_delay_alu instid0(VALU_DEP_3) | instskip(SKIP_1) | instid1(VALU_DEP_3)
	v_fmac_f32_e32 v14, v8, v13
	v_add_nc_u32_e32 v7, v19, v9
	v_div_fixup_f32 v10, v21, v10, 1.0
	s_delay_alu instid0(VALU_DEP_1) | instskip(NEXT) | instid1(VALU_DEP_4)
	v_mul_f32_e32 v9, v24, v10
	v_mul_f32_e32 v10, v14, v10
	global_store_b64 v[11:12], v[9:10], off
	v_cmpx_lt_i32_e64 v7, v20
	s_cbranch_execz .LBB33_36
; %bb.42:                               ;   in Loop: Header=BB33_38 Depth=1
	s_mov_b32 s24, 0
	s_branch .LBB33_44
.LBB33_43:                              ;   in Loop: Header=BB33_44 Depth=2
	s_wait_alu 0xfffe
	s_or_b32 exec_lo, exec_lo, s25
	v_add_nc_u32_e32 v7, 64, v7
	s_delay_alu instid0(VALU_DEP_1)
	v_cmp_ge_i32_e32 vcc_lo, v7, v20
	s_or_b32 s24, vcc_lo, s24
	s_wait_alu 0xfffe
	s_and_not1_b32 exec_lo, exec_lo, s24
	s_cbranch_execz .LBB33_36
.LBB33_44:                              ;   Parent Loop BB33_38 Depth=1
                                        ; =>  This Loop Header: Depth=2
                                        ;       Child Loop BB33_53 Depth 3
	v_ashrrev_i32_e32 v8, 31, v7
	s_mov_b32 s25, 0
                                        ; implicit-def: $sgpr26
                                        ; implicit-def: $sgpr27
                                        ; implicit-def: $sgpr30
	s_delay_alu instid0(VALU_DEP_1) | instskip(NEXT) | instid1(VALU_DEP_1)
	v_lshlrev_b64_e32 v[11:12], 2, v[7:8]
	v_add_co_u32 v11, vcc_lo, s6, v11
	s_wait_alu 0xfffd
	s_delay_alu instid0(VALU_DEP_2)
	v_add_co_ci_u32_e64 v12, null, s7, v12, vcc_lo
	global_load_b32 v11, v[11:12], off
	v_mov_b32_e32 v12, 64
	s_wait_loadcnt 0x0
	v_mul_lo_u32 v14, v11, 39
	s_branch .LBB33_53
.LBB33_45:                              ;   in Loop: Header=BB33_53 Depth=3
	s_or_b32 exec_lo, exec_lo, s41
	s_delay_alu instid0(SALU_CYCLE_1)
	s_or_not1_b32 s39, s39, exec_lo
	s_or_not1_b32 s40, s40, exec_lo
.LBB33_46:                              ;   in Loop: Header=BB33_53 Depth=3
	s_or_b32 exec_lo, exec_lo, s38
	s_delay_alu instid0(SALU_CYCLE_1)
	s_and_b32 s39, s39, exec_lo
	s_or_not1_b32 s38, s40, exec_lo
.LBB33_47:                              ;   in Loop: Header=BB33_53 Depth=3
	s_or_b32 exec_lo, exec_lo, s37
	s_delay_alu instid0(SALU_CYCLE_1)
	s_or_not1_b32 s37, s39, exec_lo
	s_or_not1_b32 s38, s38, exec_lo
.LBB33_48:                              ;   in Loop: Header=BB33_53 Depth=3
	s_or_b32 exec_lo, exec_lo, s36
	s_delay_alu instid0(SALU_CYCLE_1)
	s_and_b32 s37, s37, exec_lo
	s_or_not1_b32 s36, s38, exec_lo
.LBB33_49:                              ;   in Loop: Header=BB33_53 Depth=3
	s_or_b32 exec_lo, exec_lo, s35
	s_delay_alu instid0(SALU_CYCLE_1)
	s_or_not1_b32 s35, s37, exec_lo
	s_or_not1_b32 s36, s36, exec_lo
.LBB33_50:                              ;   in Loop: Header=BB33_53 Depth=3
	s_or_b32 exec_lo, exec_lo, s34
	s_delay_alu instid0(SALU_CYCLE_1)
	s_and_b32 s35, s35, exec_lo
	s_or_not1_b32 s34, s36, exec_lo
.LBB33_51:                              ;   in Loop: Header=BB33_53 Depth=3
	s_or_b32 exec_lo, exec_lo, s33
	s_delay_alu instid0(SALU_CYCLE_1)
	s_and_not1_b32 s30, s30, exec_lo
	s_and_b32 s33, s35, exec_lo
	s_and_not1_b32 s27, s27, exec_lo
	s_and_b32 s34, s34, exec_lo
	s_or_b32 s30, s30, s33
	s_or_b32 s27, s27, s34
.LBB33_52:                              ;   in Loop: Header=BB33_53 Depth=3
	s_or_b32 exec_lo, exec_lo, s31
	s_delay_alu instid0(SALU_CYCLE_1) | instskip(SKIP_4) | instid1(SALU_CYCLE_1)
	s_and_b32 s31, exec_lo, s27
	s_wait_alu 0xfffe
	s_or_b32 s25, s31, s25
	s_and_not1_b32 s26, s26, exec_lo
	s_and_b32 s31, s30, exec_lo
	s_or_b32 s26, s26, s31
	s_wait_alu 0xfffe
	s_and_not1_b32 exec_lo, exec_lo, s25
	s_cbranch_execz .LBB33_62
.LBB33_53:                              ;   Parent Loop BB33_38 Depth=1
                                        ;     Parent Loop BB33_44 Depth=2
                                        ; =>    This Inner Loop Header: Depth=3
	s_delay_alu instid0(VALU_DEP_1) | instskip(SKIP_3) | instid1(VALU_DEP_1)
	v_and_b32_e32 v13, 63, v14
	s_or_b32 s30, s30, exec_lo
	s_or_b32 s27, s27, exec_lo
	s_mov_b32 s31, exec_lo
	v_lshl_add_u32 v21, v13, 2, v17
	ds_load_b32 v21, v21
	s_wait_dscnt 0x0
	v_cmpx_ne_u32_e32 -1, v21
	s_cbranch_execz .LBB33_52
; %bb.54:                               ;   in Loop: Header=BB33_53 Depth=3
	s_mov_b32 s34, -1
	s_mov_b32 s35, 0
	s_mov_b32 s33, exec_lo
	v_cmpx_ne_u32_e64 v21, v11
	s_cbranch_execz .LBB33_51
; %bb.55:                               ;   in Loop: Header=BB33_53 Depth=3
	v_add_nc_u32_e32 v13, 1, v14
	s_mov_b32 s36, -1
	s_mov_b32 s35, -1
	s_mov_b32 s34, exec_lo
	s_delay_alu instid0(VALU_DEP_1) | instskip(NEXT) | instid1(VALU_DEP_1)
	v_and_b32_e32 v13, 63, v13
	v_lshl_add_u32 v21, v13, 2, v17
	ds_load_b32 v21, v21
	s_wait_dscnt 0x0
	v_cmpx_ne_u32_e32 -1, v21
	s_cbranch_execz .LBB33_50
; %bb.56:                               ;   in Loop: Header=BB33_53 Depth=3
	s_mov_b32 s37, 0
	s_mov_b32 s35, exec_lo
	v_cmpx_ne_u32_e64 v21, v11
	s_cbranch_execz .LBB33_49
; %bb.57:                               ;   in Loop: Header=BB33_53 Depth=3
	v_add_nc_u32_e32 v13, 2, v14
	s_mov_b32 s38, -1
	s_mov_b32 s37, -1
	s_mov_b32 s36, exec_lo
	s_delay_alu instid0(VALU_DEP_1) | instskip(NEXT) | instid1(VALU_DEP_1)
	v_and_b32_e32 v13, 63, v13
	v_lshl_add_u32 v21, v13, 2, v17
	ds_load_b32 v21, v21
	s_wait_dscnt 0x0
	v_cmpx_ne_u32_e32 -1, v21
	s_cbranch_execz .LBB33_48
; %bb.58:                               ;   in Loop: Header=BB33_53 Depth=3
	s_mov_b32 s39, 0
	s_mov_b32 s37, exec_lo
	v_cmpx_ne_u32_e64 v21, v11
	s_cbranch_execz .LBB33_47
; %bb.59:                               ;   in Loop: Header=BB33_53 Depth=3
	v_add_nc_u32_e32 v13, 3, v14
	s_mov_b32 s40, -1
	s_mov_b32 s39, -1
	s_mov_b32 s38, exec_lo
	s_delay_alu instid0(VALU_DEP_1) | instskip(NEXT) | instid1(VALU_DEP_1)
	v_and_b32_e32 v13, 63, v13
	v_lshl_add_u32 v14, v13, 2, v17
	ds_load_b32 v21, v14
                                        ; implicit-def: $vgpr14
	s_wait_dscnt 0x0
	v_cmpx_ne_u32_e32 -1, v21
	s_cbranch_execz .LBB33_46
; %bb.60:                               ;   in Loop: Header=BB33_53 Depth=3
	s_mov_b32 s39, 0
	s_mov_b32 s41, exec_lo
                                        ; implicit-def: $vgpr14
	v_cmpx_ne_u32_e64 v21, v11
	s_cbranch_execz .LBB33_45
; %bb.61:                               ;   in Loop: Header=BB33_53 Depth=3
	v_add_nc_u32_e32 v12, -4, v12
	v_add_nc_u32_e32 v14, 1, v13
	s_mov_b32 s39, exec_lo
	s_delay_alu instid0(VALU_DEP_2)
	v_cmp_eq_u32_e32 vcc_lo, 0, v12
	s_or_not1_b32 s40, vcc_lo, exec_lo
	s_branch .LBB33_45
.LBB33_62:                              ;   in Loop: Header=BB33_44 Depth=2
	s_or_b32 exec_lo, exec_lo, s25
	s_xor_b32 s25, s26, -1
	s_wait_alu 0xfffe
	s_and_saveexec_b32 s26, s25
	s_delay_alu instid0(SALU_CYCLE_1)
	s_xor_b32 s25, exec_lo, s26
	s_cbranch_execz .LBB33_43
; %bb.63:                               ;   in Loop: Header=BB33_44 Depth=2
	v_lshl_add_u32 v11, v13, 2, v18
	v_lshlrev_b64_e32 v[13:14], 3, v[7:8]
	ds_load_b32 v11, v11
	v_add_co_u32 v13, vcc_lo, s8, v13
	s_wait_alu 0xfffd
	v_add_co_ci_u32_e64 v14, null, s9, v14, vcc_lo
	s_wait_dscnt 0x0
	v_ashrrev_i32_e32 v12, 31, v11
	s_delay_alu instid0(VALU_DEP_1) | instskip(NEXT) | instid1(VALU_DEP_1)
	v_lshlrev_b64_e32 v[11:12], 3, v[11:12]
	v_add_co_u32 v11, vcc_lo, s8, v11
	s_wait_alu 0xfffd
	s_delay_alu instid0(VALU_DEP_2)
	v_add_co_ci_u32_e64 v12, null, s9, v12, vcc_lo
	s_clause 0x1
	global_load_b64 v[13:14], v[13:14], off
	global_load_b64 v[21:22], v[11:12], off
	s_wait_loadcnt 0x0
	v_fma_f32 v21, -v9, v13, v21
	v_fma_f32 v8, -v10, v13, v22
	s_delay_alu instid0(VALU_DEP_2) | instskip(NEXT) | instid1(VALU_DEP_2)
	v_fmac_f32_e32 v21, v10, v14
	v_fma_f32 v22, -v9, v14, v8
	global_store_b64 v[11:12], v[21:22], off
	s_branch .LBB33_43
.LBB33_64:
	s_or_b32 exec_lo, exec_lo, s14
	s_delay_alu instid0(SALU_CYCLE_1)
	s_mov_b32 s4, exec_lo
	s_wait_loadcnt 0x0
	s_wait_storecnt 0x0
	global_inv scope:SCOPE_SE
	v_cmpx_lt_i32_e32 -1, v5
	s_cbranch_execz .LBB33_86
; %bb.65:
	v_mov_b32_e32 v6, 0
	s_mov_b32 s2, exec_lo
	s_delay_alu instid0(VALU_DEP_1) | instskip(NEXT) | instid1(VALU_DEP_1)
	v_lshlrev_b64_e32 v[7:8], 3, v[5:6]
	v_add_co_u32 v9, vcc_lo, s8, v7
	s_wait_alu 0xfffd
	s_delay_alu instid0(VALU_DEP_2)
	v_add_co_ci_u32_e64 v10, null, s9, v8, vcc_lo
	global_load_b64 v[7:8], v[9:10], off
	s_wait_loadcnt 0x0
	v_cmp_gt_f32_e32 vcc_lo, 0, v7
	s_wait_alu 0xfffd
	v_cndmask_b32_e64 v5, v7, -v7, vcc_lo
	v_cmp_gt_f32_e32 vcc_lo, 0, v8
	s_wait_alu 0xfffd
	v_cndmask_b32_e64 v11, v8, -v8, vcc_lo
	s_delay_alu instid0(VALU_DEP_1)
	v_cmpx_ngt_f32_e32 v5, v11
	s_wait_alu 0xfffe
	s_xor_b32 s5, exec_lo, s2
	s_cbranch_execz .LBB33_69
; %bb.66:
	s_mov_b32 s6, exec_lo
	v_cmpx_neq_f32_e32 0, v8
	s_cbranch_execz .LBB33_68
; %bb.67:
	v_div_scale_f32 v6, null, v11, v11, v5
	v_div_scale_f32 v14, vcc_lo, v5, v11, v5
	s_delay_alu instid0(VALU_DEP_2) | instskip(NEXT) | instid1(TRANS32_DEP_1)
	v_rcp_f32_e32 v12, v6
	v_fma_f32 v13, -v6, v12, 1.0
	s_delay_alu instid0(VALU_DEP_1) | instskip(NEXT) | instid1(VALU_DEP_1)
	v_fmac_f32_e32 v12, v13, v12
	v_mul_f32_e32 v13, v14, v12
	s_delay_alu instid0(VALU_DEP_1) | instskip(NEXT) | instid1(VALU_DEP_1)
	v_fma_f32 v17, -v6, v13, v14
	v_fmac_f32_e32 v13, v17, v12
	s_delay_alu instid0(VALU_DEP_1) | instskip(SKIP_1) | instid1(VALU_DEP_1)
	v_fma_f32 v6, -v6, v13, v14
	s_wait_alu 0xfffd
	v_div_fmas_f32 v6, v6, v12, v13
	s_delay_alu instid0(VALU_DEP_1) | instskip(NEXT) | instid1(VALU_DEP_1)
	v_div_fixup_f32 v5, v6, v11, v5
	v_fma_f32 v5, v5, v5, 1.0
	s_delay_alu instid0(VALU_DEP_1) | instskip(SKIP_2) | instid1(VALU_DEP_2)
	v_mul_f32_e32 v6, 0x4f800000, v5
	v_cmp_gt_f32_e32 vcc_lo, 0xf800000, v5
	s_wait_alu 0xfffd
	v_cndmask_b32_e32 v5, v5, v6, vcc_lo
	s_delay_alu instid0(VALU_DEP_1) | instskip(NEXT) | instid1(TRANS32_DEP_1)
	v_sqrt_f32_e32 v6, v5
	v_add_nc_u32_e32 v12, -1, v6
	v_add_nc_u32_e32 v13, 1, v6
	s_delay_alu instid0(VALU_DEP_2) | instskip(NEXT) | instid1(VALU_DEP_2)
	v_fma_f32 v14, -v12, v6, v5
	v_fma_f32 v17, -v13, v6, v5
	s_delay_alu instid0(VALU_DEP_2) | instskip(SKIP_1) | instid1(VALU_DEP_1)
	v_cmp_ge_f32_e64 s2, 0, v14
	s_wait_alu 0xf1ff
	v_cndmask_b32_e64 v6, v6, v12, s2
	s_delay_alu instid0(VALU_DEP_3) | instskip(SKIP_1) | instid1(VALU_DEP_1)
	v_cmp_lt_f32_e64 s2, 0, v17
	s_wait_alu 0xf1ff
	v_cndmask_b32_e64 v6, v6, v13, s2
	s_delay_alu instid0(VALU_DEP_1) | instskip(NEXT) | instid1(VALU_DEP_1)
	v_mul_f32_e32 v12, 0x37800000, v6
	v_cndmask_b32_e32 v6, v6, v12, vcc_lo
	v_cmp_class_f32_e64 vcc_lo, v5, 0x260
	s_wait_alu 0xfffd
	s_delay_alu instid0(VALU_DEP_2) | instskip(NEXT) | instid1(VALU_DEP_1)
	v_cndmask_b32_e32 v5, v6, v5, vcc_lo
	v_mul_f32_e32 v6, v11, v5
.LBB33_68:
	s_wait_alu 0xfffe
	s_or_b32 exec_lo, exec_lo, s6
                                        ; implicit-def: $vgpr5
                                        ; implicit-def: $vgpr11
.LBB33_69:
	s_wait_alu 0xfffe
	s_and_not1_saveexec_b32 s5, s5
	s_cbranch_execz .LBB33_71
; %bb.70:
	v_div_scale_f32 v6, null, v5, v5, v11
	v_div_scale_f32 v14, vcc_lo, v11, v5, v11
	s_delay_alu instid0(VALU_DEP_2) | instskip(NEXT) | instid1(TRANS32_DEP_1)
	v_rcp_f32_e32 v12, v6
	v_fma_f32 v13, -v6, v12, 1.0
	s_delay_alu instid0(VALU_DEP_1) | instskip(NEXT) | instid1(VALU_DEP_1)
	v_fmac_f32_e32 v12, v13, v12
	v_mul_f32_e32 v13, v14, v12
	s_delay_alu instid0(VALU_DEP_1) | instskip(NEXT) | instid1(VALU_DEP_1)
	v_fma_f32 v17, -v6, v13, v14
	v_fmac_f32_e32 v13, v17, v12
	s_delay_alu instid0(VALU_DEP_1) | instskip(SKIP_1) | instid1(VALU_DEP_1)
	v_fma_f32 v6, -v6, v13, v14
	s_wait_alu 0xfffd
	v_div_fmas_f32 v6, v6, v12, v13
	s_delay_alu instid0(VALU_DEP_1) | instskip(NEXT) | instid1(VALU_DEP_1)
	v_div_fixup_f32 v6, v6, v5, v11
	v_fma_f32 v6, v6, v6, 1.0
	s_delay_alu instid0(VALU_DEP_1) | instskip(SKIP_2) | instid1(VALU_DEP_2)
	v_mul_f32_e32 v11, 0x4f800000, v6
	v_cmp_gt_f32_e32 vcc_lo, 0xf800000, v6
	s_wait_alu 0xfffd
	v_cndmask_b32_e32 v6, v6, v11, vcc_lo
	s_delay_alu instid0(VALU_DEP_1) | instskip(NEXT) | instid1(TRANS32_DEP_1)
	v_sqrt_f32_e32 v11, v6
	v_add_nc_u32_e32 v12, -1, v11
	v_add_nc_u32_e32 v13, 1, v11
	s_delay_alu instid0(VALU_DEP_2) | instskip(NEXT) | instid1(VALU_DEP_2)
	v_fma_f32 v14, -v12, v11, v6
	v_fma_f32 v17, -v13, v11, v6
	s_delay_alu instid0(VALU_DEP_2) | instskip(SKIP_1) | instid1(VALU_DEP_1)
	v_cmp_ge_f32_e64 s2, 0, v14
	s_wait_alu 0xf1ff
	v_cndmask_b32_e64 v11, v11, v12, s2
	s_delay_alu instid0(VALU_DEP_3) | instskip(SKIP_1) | instid1(VALU_DEP_1)
	v_cmp_lt_f32_e64 s2, 0, v17
	s_wait_alu 0xf1ff
	v_cndmask_b32_e64 v11, v11, v13, s2
	s_delay_alu instid0(VALU_DEP_1) | instskip(NEXT) | instid1(VALU_DEP_1)
	v_mul_f32_e32 v12, 0x37800000, v11
	v_cndmask_b32_e32 v11, v11, v12, vcc_lo
	v_cmp_class_f32_e64 vcc_lo, v6, 0x260
	s_wait_alu 0xfffd
	s_delay_alu instid0(VALU_DEP_2) | instskip(NEXT) | instid1(VALU_DEP_1)
	v_cndmask_b32_e32 v6, v11, v6, vcc_lo
	v_mul_f32_e32 v6, v5, v6
.LBB33_71:
	s_wait_alu 0xfffe
	s_or_b32 exec_lo, exec_lo, s5
	s_delay_alu instid0(VALU_DEP_1)
	v_cvt_f64_f32_e32 v[5:6], v6
	v_cmp_ne_u32_e32 vcc_lo, 1, v16
	v_cmp_eq_u32_e64 s2, 0, v15
	s_mov_b32 s5, -1
	s_cbranch_vccnz .LBB33_75
; %bb.72:
	v_cvt_f64_f32_e32 v[11:12], s29
	s_cmp_eq_u64 s[20:21], 8
	s_cselect_b32 vcc_lo, -1, 0
	s_wait_alu 0xfffe
	s_delay_alu instid0(VALU_DEP_1) | instskip(NEXT) | instid1(VALU_DEP_1)
	v_dual_cndmask_b32 v3, v12, v3 :: v_dual_cndmask_b32 v2, v11, v2
	v_cmp_ge_f64_e32 vcc_lo, v[2:3], v[5:6]
	s_and_b32 s6, s2, vcc_lo
	s_wait_alu 0xfffe
	s_and_saveexec_b32 s5, s6
	s_cbranch_execz .LBB33_74
; %bb.73:
	v_dual_mov_b32 v2, s3 :: v_dual_mov_b32 v3, s22
	global_store_b64 v[9:10], v[2:3], off
	s_wait_storecnt 0x0
	global_inv scope:SCOPE_DEV
.LBB33_74:
	s_wait_alu 0xfffe
	s_or_b32 exec_lo, exec_lo, s5
	s_mov_b32 s5, 0
.LBB33_75:
	s_wait_alu 0xfffe
	s_and_not1_b32 vcc_lo, exec_lo, s5
	s_wait_alu 0xfffe
	s_cbranch_vccnz .LBB33_86
; %bb.76:
	s_load_b64 s[0:1], s[0:1], 0x48
	v_add_nc_u32_e32 v2, s28, v4
	s_wait_kmcnt 0x0
	v_cmp_ge_f64_e32 vcc_lo, s[0:1], v[5:6]
	s_and_b32 s1, s2, vcc_lo
	s_wait_alu 0xfffe
	s_and_saveexec_b32 s0, s1
	s_cbranch_execz .LBB33_81
; %bb.77:
	s_mov_b32 s3, exec_lo
	s_brev_b32 s1, -2
.LBB33_78:                              ; =>This Inner Loop Header: Depth=1
	s_wait_alu 0xfffe
	s_ctz_i32_b32 s5, s3
	s_wait_alu 0xfffe
	v_readlane_b32 s6, v2, s5
	s_lshl_b32 s5, 1, s5
	s_wait_alu 0xfffe
	s_and_not1_b32 s3, s3, s5
	s_min_i32 s1, s1, s6
	s_wait_alu 0xfffe
	s_cmp_lg_u32 s3, 0
	s_cbranch_scc1 .LBB33_78
; %bb.79:
	v_mbcnt_lo_u32_b32 v3, exec_lo, 0
	s_mov_b32 s3, exec_lo
	s_delay_alu instid0(VALU_DEP_1)
	v_cmpx_eq_u32_e32 0, v3
	s_wait_alu 0xfffe
	s_xor_b32 s3, exec_lo, s3
	s_cbranch_execz .LBB33_81
; %bb.80:
	v_dual_mov_b32 v3, 0 :: v_dual_mov_b32 v4, s1
	global_atomic_min_i32 v3, v4, s[18:19] scope:SCOPE_DEV
.LBB33_81:
	s_wait_alu 0xfffe
	s_or_b32 exec_lo, exec_lo, s0
	v_cmp_eq_f32_e32 vcc_lo, 0, v7
	v_cmp_eq_f32_e64 s0, 0, v8
	s_and_b32 s0, vcc_lo, s0
	s_wait_alu 0xfffe
	s_and_b32 s0, s2, s0
	s_wait_alu 0xfffe
	s_and_b32 exec_lo, exec_lo, s0
	s_cbranch_execz .LBB33_86
; %bb.82:
	s_mov_b32 s1, exec_lo
	s_brev_b32 s0, -2
.LBB33_83:                              ; =>This Inner Loop Header: Depth=1
	s_wait_alu 0xfffe
	s_ctz_i32_b32 s2, s1
	s_wait_alu 0xfffe
	v_readlane_b32 s3, v2, s2
	s_lshl_b32 s2, 1, s2
	s_wait_alu 0xfffe
	s_and_not1_b32 s1, s1, s2
	s_min_i32 s0, s0, s3
	s_wait_alu 0xfffe
	s_cmp_lg_u32 s1, 0
	s_cbranch_scc1 .LBB33_83
; %bb.84:
	v_mbcnt_lo_u32_b32 v2, exec_lo, 0
	s_mov_b32 s1, exec_lo
	s_delay_alu instid0(VALU_DEP_1)
	v_cmpx_eq_u32_e32 0, v2
	s_wait_alu 0xfffe
	s_xor_b32 s1, exec_lo, s1
	s_cbranch_execz .LBB33_86
; %bb.85:
	v_dual_mov_b32 v2, 0 :: v_dual_mov_b32 v3, s0
	global_atomic_min_i32 v2, v3, s[16:17] scope:SCOPE_DEV
.LBB33_86:
	s_wait_alu 0xfffe
	s_or_b32 exec_lo, exec_lo, s4
	v_cmp_eq_u32_e32 vcc_lo, 0, v15
	s_wait_loadcnt 0x0
	s_wait_storecnt 0x0
	global_inv scope:SCOPE_DEV
	s_and_b32 exec_lo, exec_lo, vcc_lo
	s_cbranch_execz .LBB33_88
; %bb.87:
	v_add_co_u32 v0, vcc_lo, s12, v0
	s_wait_alu 0xfffd
	v_add_co_ci_u32_e64 v1, null, s13, v1, vcc_lo
	v_mov_b32_e32 v2, 1
	s_wait_loadcnt 0x0
	global_store_b32 v[0:1], v2, off scope:SCOPE_DEV
.LBB33_88:
	s_endpgm
	.section	.rodata,"a",@progbits
	.p2align	6, 0x0
	.amdhsa_kernel _ZN9rocsparseL12csrilu0_hashILj256ELj64ELj1E21rocsparse_complex_numIfEEEviPKiS4_PT2_S4_PiS4_S7_S7_d21rocsparse_index_base_imNS_24const_host_device_scalarIfEENS9_IdEENS9_IS5_EEb
		.amdhsa_group_segment_fixed_size 2048
		.amdhsa_private_segment_fixed_size 0
		.amdhsa_kernarg_size 124
		.amdhsa_user_sgpr_count 2
		.amdhsa_user_sgpr_dispatch_ptr 0
		.amdhsa_user_sgpr_queue_ptr 0
		.amdhsa_user_sgpr_kernarg_segment_ptr 1
		.amdhsa_user_sgpr_dispatch_id 0
		.amdhsa_user_sgpr_private_segment_size 0
		.amdhsa_wavefront_size32 1
		.amdhsa_uses_dynamic_stack 0
		.amdhsa_enable_private_segment 0
		.amdhsa_system_sgpr_workgroup_id_x 1
		.amdhsa_system_sgpr_workgroup_id_y 0
		.amdhsa_system_sgpr_workgroup_id_z 0
		.amdhsa_system_sgpr_workgroup_info 0
		.amdhsa_system_vgpr_workitem_id 0
		.amdhsa_next_free_vgpr 26
		.amdhsa_next_free_sgpr 42
		.amdhsa_reserve_vcc 1
		.amdhsa_float_round_mode_32 0
		.amdhsa_float_round_mode_16_64 0
		.amdhsa_float_denorm_mode_32 3
		.amdhsa_float_denorm_mode_16_64 3
		.amdhsa_fp16_overflow 0
		.amdhsa_workgroup_processor_mode 1
		.amdhsa_memory_ordered 1
		.amdhsa_forward_progress 1
		.amdhsa_inst_pref_size 30
		.amdhsa_round_robin_scheduling 0
		.amdhsa_exception_fp_ieee_invalid_op 0
		.amdhsa_exception_fp_denorm_src 0
		.amdhsa_exception_fp_ieee_div_zero 0
		.amdhsa_exception_fp_ieee_overflow 0
		.amdhsa_exception_fp_ieee_underflow 0
		.amdhsa_exception_fp_ieee_inexact 0
		.amdhsa_exception_int_div_zero 0
	.end_amdhsa_kernel
	.section	.text._ZN9rocsparseL12csrilu0_hashILj256ELj64ELj1E21rocsparse_complex_numIfEEEviPKiS4_PT2_S4_PiS4_S7_S7_d21rocsparse_index_base_imNS_24const_host_device_scalarIfEENS9_IdEENS9_IS5_EEb,"axG",@progbits,_ZN9rocsparseL12csrilu0_hashILj256ELj64ELj1E21rocsparse_complex_numIfEEEviPKiS4_PT2_S4_PiS4_S7_S7_d21rocsparse_index_base_imNS_24const_host_device_scalarIfEENS9_IdEENS9_IS5_EEb,comdat
.Lfunc_end33:
	.size	_ZN9rocsparseL12csrilu0_hashILj256ELj64ELj1E21rocsparse_complex_numIfEEEviPKiS4_PT2_S4_PiS4_S7_S7_d21rocsparse_index_base_imNS_24const_host_device_scalarIfEENS9_IdEENS9_IS5_EEb, .Lfunc_end33-_ZN9rocsparseL12csrilu0_hashILj256ELj64ELj1E21rocsparse_complex_numIfEEEviPKiS4_PT2_S4_PiS4_S7_S7_d21rocsparse_index_base_imNS_24const_host_device_scalarIfEENS9_IdEENS9_IS5_EEb
                                        ; -- End function
	.set _ZN9rocsparseL12csrilu0_hashILj256ELj64ELj1E21rocsparse_complex_numIfEEEviPKiS4_PT2_S4_PiS4_S7_S7_d21rocsparse_index_base_imNS_24const_host_device_scalarIfEENS9_IdEENS9_IS5_EEb.num_vgpr, 26
	.set _ZN9rocsparseL12csrilu0_hashILj256ELj64ELj1E21rocsparse_complex_numIfEEEviPKiS4_PT2_S4_PiS4_S7_S7_d21rocsparse_index_base_imNS_24const_host_device_scalarIfEENS9_IdEENS9_IS5_EEb.num_agpr, 0
	.set _ZN9rocsparseL12csrilu0_hashILj256ELj64ELj1E21rocsparse_complex_numIfEEEviPKiS4_PT2_S4_PiS4_S7_S7_d21rocsparse_index_base_imNS_24const_host_device_scalarIfEENS9_IdEENS9_IS5_EEb.numbered_sgpr, 42
	.set _ZN9rocsparseL12csrilu0_hashILj256ELj64ELj1E21rocsparse_complex_numIfEEEviPKiS4_PT2_S4_PiS4_S7_S7_d21rocsparse_index_base_imNS_24const_host_device_scalarIfEENS9_IdEENS9_IS5_EEb.num_named_barrier, 0
	.set _ZN9rocsparseL12csrilu0_hashILj256ELj64ELj1E21rocsparse_complex_numIfEEEviPKiS4_PT2_S4_PiS4_S7_S7_d21rocsparse_index_base_imNS_24const_host_device_scalarIfEENS9_IdEENS9_IS5_EEb.private_seg_size, 0
	.set _ZN9rocsparseL12csrilu0_hashILj256ELj64ELj1E21rocsparse_complex_numIfEEEviPKiS4_PT2_S4_PiS4_S7_S7_d21rocsparse_index_base_imNS_24const_host_device_scalarIfEENS9_IdEENS9_IS5_EEb.uses_vcc, 1
	.set _ZN9rocsparseL12csrilu0_hashILj256ELj64ELj1E21rocsparse_complex_numIfEEEviPKiS4_PT2_S4_PiS4_S7_S7_d21rocsparse_index_base_imNS_24const_host_device_scalarIfEENS9_IdEENS9_IS5_EEb.uses_flat_scratch, 0
	.set _ZN9rocsparseL12csrilu0_hashILj256ELj64ELj1E21rocsparse_complex_numIfEEEviPKiS4_PT2_S4_PiS4_S7_S7_d21rocsparse_index_base_imNS_24const_host_device_scalarIfEENS9_IdEENS9_IS5_EEb.has_dyn_sized_stack, 0
	.set _ZN9rocsparseL12csrilu0_hashILj256ELj64ELj1E21rocsparse_complex_numIfEEEviPKiS4_PT2_S4_PiS4_S7_S7_d21rocsparse_index_base_imNS_24const_host_device_scalarIfEENS9_IdEENS9_IS5_EEb.has_recursion, 0
	.set _ZN9rocsparseL12csrilu0_hashILj256ELj64ELj1E21rocsparse_complex_numIfEEEviPKiS4_PT2_S4_PiS4_S7_S7_d21rocsparse_index_base_imNS_24const_host_device_scalarIfEENS9_IdEENS9_IS5_EEb.has_indirect_call, 0
	.section	.AMDGPU.csdata,"",@progbits
; Kernel info:
; codeLenInByte = 3840
; TotalNumSgprs: 44
; NumVgprs: 26
; ScratchSize: 0
; MemoryBound: 0
; FloatMode: 240
; IeeeMode: 1
; LDSByteSize: 2048 bytes/workgroup (compile time only)
; SGPRBlocks: 0
; VGPRBlocks: 3
; NumSGPRsForWavesPerEU: 44
; NumVGPRsForWavesPerEU: 26
; Occupancy: 16
; WaveLimiterHint : 1
; COMPUTE_PGM_RSRC2:SCRATCH_EN: 0
; COMPUTE_PGM_RSRC2:USER_SGPR: 2
; COMPUTE_PGM_RSRC2:TRAP_HANDLER: 0
; COMPUTE_PGM_RSRC2:TGID_X_EN: 1
; COMPUTE_PGM_RSRC2:TGID_Y_EN: 0
; COMPUTE_PGM_RSRC2:TGID_Z_EN: 0
; COMPUTE_PGM_RSRC2:TIDIG_COMP_CNT: 0
	.section	.text._ZN9rocsparseL12csrilu0_hashILj256ELj64ELj2E21rocsparse_complex_numIfEEEviPKiS4_PT2_S4_PiS4_S7_S7_d21rocsparse_index_base_imNS_24const_host_device_scalarIfEENS9_IdEENS9_IS5_EEb,"axG",@progbits,_ZN9rocsparseL12csrilu0_hashILj256ELj64ELj2E21rocsparse_complex_numIfEEEviPKiS4_PT2_S4_PiS4_S7_S7_d21rocsparse_index_base_imNS_24const_host_device_scalarIfEENS9_IdEENS9_IS5_EEb,comdat
	.globl	_ZN9rocsparseL12csrilu0_hashILj256ELj64ELj2E21rocsparse_complex_numIfEEEviPKiS4_PT2_S4_PiS4_S7_S7_d21rocsparse_index_base_imNS_24const_host_device_scalarIfEENS9_IdEENS9_IS5_EEb ; -- Begin function _ZN9rocsparseL12csrilu0_hashILj256ELj64ELj2E21rocsparse_complex_numIfEEEviPKiS4_PT2_S4_PiS4_S7_S7_d21rocsparse_index_base_imNS_24const_host_device_scalarIfEENS9_IdEENS9_IS5_EEb
	.p2align	8
	.type	_ZN9rocsparseL12csrilu0_hashILj256ELj64ELj2E21rocsparse_complex_numIfEEEviPKiS4_PT2_S4_PiS4_S7_S7_d21rocsparse_index_base_imNS_24const_host_device_scalarIfEENS9_IdEENS9_IS5_EEb,@function
_ZN9rocsparseL12csrilu0_hashILj256ELj64ELj2E21rocsparse_complex_numIfEEEviPKiS4_PT2_S4_PiS4_S7_S7_d21rocsparse_index_base_imNS_24const_host_device_scalarIfEENS9_IdEENS9_IS5_EEb: ; @_ZN9rocsparseL12csrilu0_hashILj256ELj64ELj2E21rocsparse_complex_numIfEEEviPKiS4_PT2_S4_PiS4_S7_S7_d21rocsparse_index_base_imNS_24const_host_device_scalarIfEENS9_IdEENS9_IS5_EEb
; %bb.0:
	s_clause 0x2
	s_load_b32 s2, s[0:1], 0x78
	s_load_b64 s[28:29], s[0:1], 0x50
	s_load_b256 s[20:27], s[0:1], 0x58
	s_wait_kmcnt 0x0
	s_bitcmp1_b32 s2, 0
	s_cselect_b32 s4, -1, 0
	s_cmp_eq_u32 s29, 0
	s_cselect_b32 s2, -1, 0
	s_cmp_lg_u32 s29, 0
	s_cselect_b32 s5, -1, 0
	s_or_b32 s7, s2, s4
	s_delay_alu instid0(SALU_CYCLE_1)
	s_xor_b32 s6, s7, -1
	s_and_b32 s2, s2, exec_lo
	s_cselect_b32 s3, 0, s25
	s_cselect_b32 s2, 0, s24
	;; [unrolled: 1-line block ×3, first 2 shown]
	s_and_b32 vcc_lo, exec_lo, s7
	s_cbranch_vccnz .LBB34_2
; %bb.1:
	s_load_b32 s29, s[22:23], 0x0
	s_mov_b64 s[2:3], s[24:25]
.LBB34_2:
	s_delay_alu instid0(SALU_CYCLE_1)
	v_dual_mov_b32 v4, s3 :: v_dual_mov_b32 v3, s2
	s_and_not1_b32 vcc_lo, exec_lo, s6
	s_cbranch_vccnz .LBB34_4
; %bb.3:
	v_dual_mov_b32 v1, s24 :: v_dual_mov_b32 v2, s25
	flat_load_b64 v[3:4], v[1:2]
.LBB34_4:
	v_cndmask_b32_e64 v17, 0, 1, s5
	s_mov_b32 s3, 0
	s_and_not1_b32 vcc_lo, exec_lo, s5
	s_mov_b32 s22, 0
	s_cbranch_vccnz .LBB34_10
; %bb.5:
	s_xor_b32 s2, s4, -1
	s_mov_b32 s3, s26
	s_wait_alu 0xfffe
	v_cndmask_b32_e64 v1, 0, 1, s2
	s_and_not1_b32 vcc_lo, exec_lo, s2
	s_cbranch_vccnz .LBB34_7
; %bb.6:
	s_load_b32 s3, s[26:27], 0x0
.LBB34_7:
	s_delay_alu instid0(VALU_DEP_1)
	v_cmp_ne_u32_e32 vcc_lo, 1, v1
	s_cbranch_vccnz .LBB34_9
; %bb.8:
	s_load_b32 s27, s[26:27], 0x4
.LBB34_9:
	s_wait_kmcnt 0x0
	s_mov_b32 s22, s27
.LBB34_10:
	v_lshrrev_b32_e32 v1, 6, v0
	v_and_b32_e32 v16, 63, v0
	s_mov_b32 s2, 0
	s_delay_alu instid0(VALU_DEP_2) | instskip(NEXT) | instid1(VALU_DEP_2)
	v_lshlrev_b32_e32 v5, 9, v1
	v_lshlrev_b32_e32 v6, 2, v16
	v_or_b32_e32 v2, 0xffffffc0, v16
	s_delay_alu instid0(VALU_DEP_2)
	v_or3_b32 v5, v5, v6, 0x800
	v_mov_b32_e32 v6, -1
.LBB34_11:                              ; =>This Inner Loop Header: Depth=1
	s_delay_alu instid0(VALU_DEP_3)
	v_add_co_u32 v2, s4, v2, 64
	s_xor_b32 s4, s4, -1
	ds_store_b32 v5, v6
	v_add_nc_u32_e32 v5, 0x100, v5
	s_wait_alu 0xfffe
	s_and_b32 s4, exec_lo, s4
	s_wait_alu 0xfffe
	s_or_b32 s2, s4, s2
	s_wait_alu 0xfffe
	s_and_not1_b32 exec_lo, exec_lo, s2
	s_cbranch_execnz .LBB34_11
; %bb.12:
	s_or_b32 exec_lo, exec_lo, s2
	s_load_b32 s2, s[0:1], 0x0
	s_lshl_b32 s4, ttmp9, 2
	s_wait_loadcnt_dscnt 0x0
	global_inv scope:SCOPE_SE
	s_wait_alu 0xfffe
	v_and_or_b32 v1, 0x3fffffc, s4, v1
	s_wait_kmcnt 0x0
	s_delay_alu instid0(VALU_DEP_1)
	v_cmp_gt_i32_e32 vcc_lo, s2, v1
	s_and_saveexec_b32 s2, vcc_lo
	s_cbranch_execz .LBB34_90
; %bb.13:
	s_load_b512 s[4:19], s[0:1], 0x8
	v_lshlrev_b32_e32 v1, 2, v1
	v_lshlrev_b32_e32 v0, 3, v0
	s_mov_b32 s2, exec_lo
	s_delay_alu instid0(VALU_DEP_1) | instskip(NEXT) | instid1(VALU_DEP_1)
	v_and_b32_e32 v0, 0x600, v0
	v_or_b32_e32 v18, 0x800, v0
	s_wait_kmcnt 0x0
	global_load_b32 v5, v1, s[14:15]
	s_wait_loadcnt 0x0
	v_ashrrev_i32_e32 v6, 31, v5
	s_delay_alu instid0(VALU_DEP_1) | instskip(NEXT) | instid1(VALU_DEP_1)
	v_lshlrev_b64_e32 v[1:2], 2, v[5:6]
	v_add_co_u32 v6, vcc_lo, s4, v1
	s_delay_alu instid0(VALU_DEP_1)
	v_add_co_ci_u32_e64 v7, null, s5, v2, vcc_lo
	v_add_co_u32 v9, vcc_lo, s10, v1
	s_wait_alu 0xfffd
	v_add_co_ci_u32_e64 v10, null, s11, v2, vcc_lo
	global_load_b64 v[7:8], v[6:7], off
	global_load_b32 v6, v[9:10], off
	s_wait_loadcnt 0x1
	v_subrev_nc_u32_e32 v7, s28, v7
	v_subrev_nc_u32_e32 v10, s28, v8
	s_delay_alu instid0(VALU_DEP_2) | instskip(NEXT) | instid1(VALU_DEP_1)
	v_add_nc_u32_e32 v8, v7, v16
	v_cmpx_lt_i32_e64 v8, v10
	s_cbranch_execz .LBB34_36
; %bb.14:
	v_mov_b32_e32 v11, -1
	s_mov_b32 s14, 0
	s_branch .LBB34_16
.LBB34_15:                              ;   in Loop: Header=BB34_16 Depth=1
	s_or_b32 exec_lo, exec_lo, s15
	v_add_nc_u32_e32 v8, 64, v8
	s_delay_alu instid0(VALU_DEP_1) | instskip(SKIP_1) | instid1(SALU_CYCLE_1)
	v_cmp_ge_i32_e32 vcc_lo, v8, v10
	s_or_b32 s14, vcc_lo, s14
	s_and_not1_b32 exec_lo, exec_lo, s14
	s_cbranch_execz .LBB34_36
.LBB34_16:                              ; =>This Loop Header: Depth=1
                                        ;     Child Loop BB34_25 Depth 2
	v_ashrrev_i32_e32 v9, 31, v8
	s_mov_b32 s15, 0
                                        ; implicit-def: $sgpr23
                                        ; implicit-def: $sgpr24
                                        ; implicit-def: $sgpr25
	s_delay_alu instid0(VALU_DEP_1) | instskip(NEXT) | instid1(VALU_DEP_1)
	v_lshlrev_b64_e32 v[12:13], 2, v[8:9]
	v_add_co_u32 v12, vcc_lo, s6, v12
	s_wait_alu 0xfffd
	s_delay_alu instid0(VALU_DEP_2)
	v_add_co_ci_u32_e64 v13, null, s7, v13, vcc_lo
	global_load_b32 v9, v[12:13], off
	v_mov_b32_e32 v12, 0x80
	s_wait_loadcnt 0x0
	v_mul_lo_u32 v14, 0x67, v9
	s_branch .LBB34_25
.LBB34_17:                              ;   in Loop: Header=BB34_25 Depth=2
	s_or_b32 exec_lo, exec_lo, s38
	s_delay_alu instid0(SALU_CYCLE_1)
	s_or_not1_b32 s36, s36, exec_lo
	s_or_not1_b32 s37, s37, exec_lo
.LBB34_18:                              ;   in Loop: Header=BB34_25 Depth=2
	s_or_b32 exec_lo, exec_lo, s35
	s_delay_alu instid0(SALU_CYCLE_1)
	s_and_b32 s36, s36, exec_lo
	s_or_not1_b32 s35, s37, exec_lo
.LBB34_19:                              ;   in Loop: Header=BB34_25 Depth=2
	s_or_b32 exec_lo, exec_lo, s34
	s_delay_alu instid0(SALU_CYCLE_1)
	s_or_not1_b32 s34, s36, exec_lo
	s_or_not1_b32 s35, s35, exec_lo
.LBB34_20:                              ;   in Loop: Header=BB34_25 Depth=2
	s_or_b32 exec_lo, exec_lo, s33
	s_delay_alu instid0(SALU_CYCLE_1)
	s_and_b32 s34, s34, exec_lo
	s_or_not1_b32 s33, s35, exec_lo
.LBB34_21:                              ;   in Loop: Header=BB34_25 Depth=2
	s_or_b32 exec_lo, exec_lo, s31
	s_delay_alu instid0(SALU_CYCLE_1)
	s_or_not1_b32 s31, s34, exec_lo
	s_or_not1_b32 s33, s33, exec_lo
.LBB34_22:                              ;   in Loop: Header=BB34_25 Depth=2
	s_or_b32 exec_lo, exec_lo, s30
	s_delay_alu instid0(SALU_CYCLE_1)
	s_and_b32 s31, s31, exec_lo
	s_or_not1_b32 s30, s33, exec_lo
.LBB34_23:                              ;   in Loop: Header=BB34_25 Depth=2
	s_or_b32 exec_lo, exec_lo, s27
	s_wait_alu 0xfffe
	s_and_not1_b32 s25, s25, exec_lo
	s_and_b32 s27, s31, exec_lo
	s_and_not1_b32 s24, s24, exec_lo
	s_and_b32 s30, s30, exec_lo
	s_wait_alu 0xfffe
	s_or_b32 s25, s25, s27
	s_or_b32 s24, s24, s30
.LBB34_24:                              ;   in Loop: Header=BB34_25 Depth=2
	s_or_b32 exec_lo, exec_lo, s26
	s_wait_alu 0xfffe
	s_and_b32 s26, exec_lo, s24
	s_delay_alu instid0(SALU_CYCLE_1) | instskip(SKIP_2) | instid1(SALU_CYCLE_1)
	s_or_b32 s15, s26, s15
	s_and_not1_b32 s23, s23, exec_lo
	s_and_b32 s26, s25, exec_lo
	s_or_b32 s23, s23, s26
	s_and_not1_b32 exec_lo, exec_lo, s15
	s_cbranch_execz .LBB34_34
.LBB34_25:                              ;   Parent Loop BB34_16 Depth=1
                                        ; =>  This Inner Loop Header: Depth=2
	s_delay_alu instid0(VALU_DEP_1) | instskip(SKIP_3) | instid1(VALU_DEP_1)
	v_and_b32_e32 v13, 0x7f, v14
	s_or_b32 s25, s25, exec_lo
	s_or_b32 s24, s24, exec_lo
	s_mov_b32 s26, exec_lo
	v_lshl_add_u32 v15, v13, 2, v18
	ds_load_b32 v19, v15
	s_wait_dscnt 0x0
	v_cmpx_ne_u32_e64 v19, v9
	s_cbranch_execz .LBB34_24
; %bb.26:                               ;   in Loop: Header=BB34_25 Depth=2
	ds_cmpstore_rtn_b32 v15, v15, v9, v11
	s_mov_b32 s30, -1
	s_mov_b32 s31, 0
	s_mov_b32 s27, exec_lo
	s_wait_dscnt 0x0
	v_cmpx_ne_u32_e32 -1, v15
	s_cbranch_execz .LBB34_23
; %bb.27:                               ;   in Loop: Header=BB34_25 Depth=2
	v_add_nc_u32_e32 v13, 1, v14
	s_mov_b32 s33, -1
	s_mov_b32 s31, -1
	s_mov_b32 s30, exec_lo
	s_delay_alu instid0(VALU_DEP_1) | instskip(NEXT) | instid1(VALU_DEP_1)
	v_and_b32_e32 v13, 0x7f, v13
	v_lshl_add_u32 v15, v13, 2, v18
	ds_load_b32 v19, v15
	s_wait_dscnt 0x0
	v_cmpx_ne_u32_e64 v19, v9
	s_cbranch_execz .LBB34_22
; %bb.28:                               ;   in Loop: Header=BB34_25 Depth=2
	ds_cmpstore_rtn_b32 v15, v15, v9, v11
	s_mov_b32 s34, 0
	s_mov_b32 s31, exec_lo
	s_wait_dscnt 0x0
	v_cmpx_ne_u32_e32 -1, v15
	s_cbranch_execz .LBB34_21
; %bb.29:                               ;   in Loop: Header=BB34_25 Depth=2
	v_add_nc_u32_e32 v13, 2, v14
	s_mov_b32 s35, -1
	s_mov_b32 s34, -1
	s_mov_b32 s33, exec_lo
	s_delay_alu instid0(VALU_DEP_1) | instskip(NEXT) | instid1(VALU_DEP_1)
	v_and_b32_e32 v13, 0x7f, v13
	v_lshl_add_u32 v15, v13, 2, v18
	ds_load_b32 v19, v15
	s_wait_dscnt 0x0
	v_cmpx_ne_u32_e64 v19, v9
	s_cbranch_execz .LBB34_20
; %bb.30:                               ;   in Loop: Header=BB34_25 Depth=2
	ds_cmpstore_rtn_b32 v15, v15, v9, v11
	s_mov_b32 s36, 0
	s_mov_b32 s34, exec_lo
	s_wait_dscnt 0x0
	v_cmpx_ne_u32_e32 -1, v15
	s_cbranch_execz .LBB34_19
; %bb.31:                               ;   in Loop: Header=BB34_25 Depth=2
	v_add_nc_u32_e32 v13, 3, v14
	s_mov_b32 s37, -1
	s_mov_b32 s36, -1
	s_delay_alu instid0(VALU_DEP_1) | instskip(NEXT) | instid1(VALU_DEP_1)
	v_and_b32_e32 v13, 0x7f, v13
	v_lshl_add_u32 v15, v13, 2, v18
	ds_load_b32 v14, v15
	s_wait_dscnt 0x0
	v_cmp_ne_u32_e32 vcc_lo, v14, v9
                                        ; implicit-def: $vgpr14
	s_and_saveexec_b32 s35, vcc_lo
	s_cbranch_execz .LBB34_18
; %bb.32:                               ;   in Loop: Header=BB34_25 Depth=2
	ds_cmpstore_rtn_b32 v14, v15, v9, v11
	s_mov_b32 s36, 0
	s_wait_dscnt 0x0
	v_cmp_ne_u32_e32 vcc_lo, -1, v14
                                        ; implicit-def: $vgpr14
	s_and_saveexec_b32 s38, vcc_lo
	s_cbranch_execz .LBB34_17
; %bb.33:                               ;   in Loop: Header=BB34_25 Depth=2
	v_add_nc_u32_e32 v12, -4, v12
	v_add_nc_u32_e32 v14, 1, v13
	s_mov_b32 s36, exec_lo
	s_delay_alu instid0(VALU_DEP_2)
	v_cmp_eq_u32_e32 vcc_lo, 0, v12
	s_or_not1_b32 s37, vcc_lo, exec_lo
	s_branch .LBB34_17
.LBB34_34:                              ;   in Loop: Header=BB34_16 Depth=1
	s_or_b32 exec_lo, exec_lo, s15
	s_xor_b32 s15, s23, -1
	s_delay_alu instid0(SALU_CYCLE_1) | instskip(NEXT) | instid1(SALU_CYCLE_1)
	s_and_saveexec_b32 s23, s15
	s_xor_b32 s15, exec_lo, s23
	s_cbranch_execz .LBB34_15
; %bb.35:                               ;   in Loop: Header=BB34_16 Depth=1
	v_lshl_add_u32 v9, v13, 2, v0
	ds_store_b32 v9, v8
	s_branch .LBB34_15
.LBB34_36:
	s_wait_alu 0xfffe
	s_or_b32 exec_lo, exec_lo, s2
	s_delay_alu instid0(SALU_CYCLE_1)
	s_mov_b32 s14, exec_lo
	s_wait_loadcnt_dscnt 0x0
	global_inv scope:SCOPE_SE
	v_cmpx_lt_i32_e64 v7, v6
	s_cbranch_execz .LBB34_66
; %bb.37:
	v_add_nc_u32_e32 v19, 1, v16
	s_mov_b32 s15, 0
	s_branch .LBB34_40
.LBB34_38:                              ;   in Loop: Header=BB34_40 Depth=1
	s_or_b32 exec_lo, exec_lo, s23
	v_add_nc_u32_e32 v7, 1, v7
	s_delay_alu instid0(VALU_DEP_1)
	v_cmp_ge_i32_e32 vcc_lo, v7, v6
	s_or_not1_b32 s23, vcc_lo, exec_lo
.LBB34_39:                              ;   in Loop: Header=BB34_40 Depth=1
	s_wait_alu 0xfffe
	s_or_b32 exec_lo, exec_lo, s2
	s_delay_alu instid0(SALU_CYCLE_1) | instskip(SKIP_2) | instid1(SALU_CYCLE_1)
	s_and_b32 s2, exec_lo, s23
	s_wait_alu 0xfffe
	s_or_b32 s15, s2, s15
	s_and_not1_b32 exec_lo, exec_lo, s15
	s_cbranch_execz .LBB34_66
.LBB34_40:                              ; =>This Loop Header: Depth=1
                                        ;     Child Loop BB34_41 Depth 2
                                        ;     Child Loop BB34_46 Depth 2
                                        ;       Child Loop BB34_55 Depth 3
	v_ashrrev_i32_e32 v8, 31, v7
	s_mov_b32 s2, 0
	s_delay_alu instid0(VALU_DEP_1) | instskip(SKIP_1) | instid1(VALU_DEP_2)
	v_lshlrev_b64_e32 v[9:10], 2, v[7:8]
	v_lshlrev_b64_e32 v[12:13], 3, v[7:8]
	v_add_co_u32 v9, vcc_lo, s6, v9
	s_wait_alu 0xfffd
	s_delay_alu instid0(VALU_DEP_3) | instskip(NEXT) | instid1(VALU_DEP_3)
	v_add_co_ci_u32_e64 v10, null, s7, v10, vcc_lo
	v_add_co_u32 v12, vcc_lo, s8, v12
	s_wait_alu 0xfffd
	v_add_co_ci_u32_e64 v13, null, s9, v13, vcc_lo
	global_load_b32 v9, v[9:10], off
	s_wait_loadcnt 0x0
	v_subrev_nc_u32_e32 v9, s28, v9
	s_delay_alu instid0(VALU_DEP_1) | instskip(NEXT) | instid1(VALU_DEP_1)
	v_ashrrev_i32_e32 v10, 31, v9
	v_lshlrev_b64_e32 v[10:11], 2, v[9:10]
	s_delay_alu instid0(VALU_DEP_1) | instskip(SKIP_1) | instid1(VALU_DEP_2)
	v_add_co_u32 v14, vcc_lo, s4, v10
	s_wait_alu 0xfffd
	v_add_co_ci_u32_e64 v15, null, s5, v11, vcc_lo
	v_add_co_u32 v20, vcc_lo, s10, v10
	s_wait_alu 0xfffd
	v_add_co_ci_u32_e64 v21, null, s11, v11, vcc_lo
	global_load_b64 v[8:9], v[12:13], off
	global_load_b32 v14, v[14:15], off offset:4
	global_load_b32 v15, v[20:21], off
	v_add_co_u32 v10, vcc_lo, s12, v10
	s_wait_alu 0xfffd
	v_add_co_ci_u32_e64 v11, null, s13, v11, vcc_lo
.LBB34_41:                              ;   Parent Loop BB34_40 Depth=1
                                        ; =>  This Inner Loop Header: Depth=2
	global_load_b32 v20, v[10:11], off scope:SCOPE_DEV
	s_wait_loadcnt 0x0
	v_cmp_ne_u32_e32 vcc_lo, 0, v20
	s_wait_alu 0xfffe
	s_or_b32 s2, vcc_lo, s2
	s_wait_alu 0xfffe
	s_and_not1_b32 exec_lo, exec_lo, s2
	s_cbranch_execnz .LBB34_41
; %bb.42:                               ;   in Loop: Header=BB34_40 Depth=1
	s_or_b32 exec_lo, exec_lo, s2
	v_subrev_nc_u32_e32 v20, s28, v14
	v_cmp_eq_u32_e32 vcc_lo, -1, v15
	global_inv scope:SCOPE_DEV
	s_mov_b32 s23, -1
	v_add_nc_u32_e32 v10, -1, v20
	s_wait_alu 0xfffd
	s_delay_alu instid0(VALU_DEP_1) | instskip(NEXT) | instid1(VALU_DEP_1)
	v_cndmask_b32_e32 v10, v15, v10, vcc_lo
	v_ashrrev_i32_e32 v11, 31, v10
	s_delay_alu instid0(VALU_DEP_1) | instskip(NEXT) | instid1(VALU_DEP_1)
	v_lshlrev_b64_e32 v[14:15], 3, v[10:11]
	v_add_co_u32 v14, vcc_lo, s8, v14
	s_wait_alu 0xfffd
	s_delay_alu instid0(VALU_DEP_2)
	v_add_co_ci_u32_e64 v15, null, s9, v15, vcc_lo
	global_load_b64 v[14:15], v[14:15], off
	s_wait_loadcnt 0x0
	v_cmp_neq_f32_e32 vcc_lo, 0, v14
	v_cmp_neq_f32_e64 s2, 0, v15
	s_or_b32 s24, vcc_lo, s2
	s_wait_alu 0xfffe
	s_and_saveexec_b32 s2, s24
	s_cbranch_execz .LBB34_39
; %bb.43:                               ;   in Loop: Header=BB34_40 Depth=1
	v_mul_f32_e32 v11, v15, v15
	s_mov_b32 s23, exec_lo
	s_delay_alu instid0(VALU_DEP_1) | instskip(NEXT) | instid1(VALU_DEP_1)
	v_fmac_f32_e32 v11, v14, v14
	v_div_scale_f32 v21, null, v11, v11, 1.0
	v_div_scale_f32 v24, vcc_lo, 1.0, v11, 1.0
	s_delay_alu instid0(VALU_DEP_2) | instskip(NEXT) | instid1(TRANS32_DEP_1)
	v_rcp_f32_e32 v22, v21
	v_fma_f32 v23, -v21, v22, 1.0
	s_delay_alu instid0(VALU_DEP_1) | instskip(NEXT) | instid1(VALU_DEP_1)
	v_fmac_f32_e32 v22, v23, v22
	v_mul_f32_e32 v23, v24, v22
	s_delay_alu instid0(VALU_DEP_1) | instskip(NEXT) | instid1(VALU_DEP_1)
	v_fma_f32 v25, -v21, v23, v24
	v_fmac_f32_e32 v23, v25, v22
	s_delay_alu instid0(VALU_DEP_1) | instskip(SKIP_3) | instid1(VALU_DEP_3)
	v_fma_f32 v21, -v21, v23, v24
	v_mul_f32_e32 v24, v9, v15
	v_mul_f32_e64 v15, v15, -v8
	s_wait_alu 0xfffd
	v_div_fmas_f32 v21, v21, v22, v23
	s_delay_alu instid0(VALU_DEP_3) | instskip(NEXT) | instid1(VALU_DEP_3)
	v_fmac_f32_e32 v24, v8, v14
	v_fmac_f32_e32 v15, v9, v14
	v_add_nc_u32_e32 v8, v19, v10
	s_delay_alu instid0(VALU_DEP_4) | instskip(NEXT) | instid1(VALU_DEP_1)
	v_div_fixup_f32 v11, v21, v11, 1.0
	v_mul_f32_e32 v10, v24, v11
	s_delay_alu instid0(VALU_DEP_4)
	v_mul_f32_e32 v11, v15, v11
	global_store_b64 v[12:13], v[10:11], off
	v_cmpx_lt_i32_e64 v8, v20
	s_cbranch_execz .LBB34_38
; %bb.44:                               ;   in Loop: Header=BB34_40 Depth=1
	s_mov_b32 s24, 0
	s_branch .LBB34_46
.LBB34_45:                              ;   in Loop: Header=BB34_46 Depth=2
	s_wait_alu 0xfffe
	s_or_b32 exec_lo, exec_lo, s25
	v_add_nc_u32_e32 v8, 64, v8
	s_delay_alu instid0(VALU_DEP_1)
	v_cmp_ge_i32_e32 vcc_lo, v8, v20
	s_or_b32 s24, vcc_lo, s24
	s_wait_alu 0xfffe
	s_and_not1_b32 exec_lo, exec_lo, s24
	s_cbranch_execz .LBB34_38
.LBB34_46:                              ;   Parent Loop BB34_40 Depth=1
                                        ; =>  This Loop Header: Depth=2
                                        ;       Child Loop BB34_55 Depth 3
	v_ashrrev_i32_e32 v9, 31, v8
	s_mov_b32 s25, 0
                                        ; implicit-def: $sgpr26
                                        ; implicit-def: $sgpr27
                                        ; implicit-def: $sgpr30
	s_delay_alu instid0(VALU_DEP_1) | instskip(NEXT) | instid1(VALU_DEP_1)
	v_lshlrev_b64_e32 v[12:13], 2, v[8:9]
	v_add_co_u32 v12, vcc_lo, s6, v12
	s_wait_alu 0xfffd
	s_delay_alu instid0(VALU_DEP_2)
	v_add_co_ci_u32_e64 v13, null, s7, v13, vcc_lo
	global_load_b32 v12, v[12:13], off
	v_mov_b32_e32 v13, 0x80
	s_wait_loadcnt 0x0
	v_mul_lo_u32 v15, 0x67, v12
	s_branch .LBB34_55
.LBB34_47:                              ;   in Loop: Header=BB34_55 Depth=3
	s_or_b32 exec_lo, exec_lo, s41
	s_delay_alu instid0(SALU_CYCLE_1)
	s_or_not1_b32 s39, s39, exec_lo
	s_or_not1_b32 s40, s40, exec_lo
.LBB34_48:                              ;   in Loop: Header=BB34_55 Depth=3
	s_or_b32 exec_lo, exec_lo, s38
	s_delay_alu instid0(SALU_CYCLE_1)
	s_and_b32 s39, s39, exec_lo
	s_or_not1_b32 s38, s40, exec_lo
.LBB34_49:                              ;   in Loop: Header=BB34_55 Depth=3
	s_or_b32 exec_lo, exec_lo, s37
	s_delay_alu instid0(SALU_CYCLE_1)
	s_or_not1_b32 s37, s39, exec_lo
	s_or_not1_b32 s38, s38, exec_lo
.LBB34_50:                              ;   in Loop: Header=BB34_55 Depth=3
	s_or_b32 exec_lo, exec_lo, s36
	s_delay_alu instid0(SALU_CYCLE_1)
	s_and_b32 s37, s37, exec_lo
	s_or_not1_b32 s36, s38, exec_lo
.LBB34_51:                              ;   in Loop: Header=BB34_55 Depth=3
	s_or_b32 exec_lo, exec_lo, s35
	s_delay_alu instid0(SALU_CYCLE_1)
	s_or_not1_b32 s35, s37, exec_lo
	s_or_not1_b32 s36, s36, exec_lo
.LBB34_52:                              ;   in Loop: Header=BB34_55 Depth=3
	s_or_b32 exec_lo, exec_lo, s34
	s_delay_alu instid0(SALU_CYCLE_1)
	s_and_b32 s35, s35, exec_lo
	s_or_not1_b32 s34, s36, exec_lo
.LBB34_53:                              ;   in Loop: Header=BB34_55 Depth=3
	s_or_b32 exec_lo, exec_lo, s33
	s_delay_alu instid0(SALU_CYCLE_1)
	s_and_not1_b32 s30, s30, exec_lo
	s_and_b32 s33, s35, exec_lo
	s_and_not1_b32 s27, s27, exec_lo
	s_and_b32 s34, s34, exec_lo
	s_or_b32 s30, s30, s33
	s_or_b32 s27, s27, s34
.LBB34_54:                              ;   in Loop: Header=BB34_55 Depth=3
	s_or_b32 exec_lo, exec_lo, s31
	s_delay_alu instid0(SALU_CYCLE_1) | instskip(SKIP_4) | instid1(SALU_CYCLE_1)
	s_and_b32 s31, exec_lo, s27
	s_wait_alu 0xfffe
	s_or_b32 s25, s31, s25
	s_and_not1_b32 s26, s26, exec_lo
	s_and_b32 s31, s30, exec_lo
	s_or_b32 s26, s26, s31
	s_wait_alu 0xfffe
	s_and_not1_b32 exec_lo, exec_lo, s25
	s_cbranch_execz .LBB34_64
.LBB34_55:                              ;   Parent Loop BB34_40 Depth=1
                                        ;     Parent Loop BB34_46 Depth=2
                                        ; =>    This Inner Loop Header: Depth=3
	s_delay_alu instid0(VALU_DEP_1) | instskip(SKIP_3) | instid1(VALU_DEP_1)
	v_and_b32_e32 v14, 0x7f, v15
	s_or_b32 s30, s30, exec_lo
	s_or_b32 s27, s27, exec_lo
	s_mov_b32 s31, exec_lo
	v_lshl_add_u32 v21, v14, 2, v18
	ds_load_b32 v21, v21
	s_wait_dscnt 0x0
	v_cmpx_ne_u32_e32 -1, v21
	s_cbranch_execz .LBB34_54
; %bb.56:                               ;   in Loop: Header=BB34_55 Depth=3
	s_mov_b32 s34, -1
	s_mov_b32 s35, 0
	s_mov_b32 s33, exec_lo
	v_cmpx_ne_u32_e64 v21, v12
	s_cbranch_execz .LBB34_53
; %bb.57:                               ;   in Loop: Header=BB34_55 Depth=3
	v_add_nc_u32_e32 v14, 1, v15
	s_mov_b32 s36, -1
	s_mov_b32 s35, -1
	s_mov_b32 s34, exec_lo
	s_delay_alu instid0(VALU_DEP_1) | instskip(NEXT) | instid1(VALU_DEP_1)
	v_and_b32_e32 v14, 0x7f, v14
	v_lshl_add_u32 v21, v14, 2, v18
	ds_load_b32 v21, v21
	s_wait_dscnt 0x0
	v_cmpx_ne_u32_e32 -1, v21
	s_cbranch_execz .LBB34_52
; %bb.58:                               ;   in Loop: Header=BB34_55 Depth=3
	s_mov_b32 s37, 0
	s_mov_b32 s35, exec_lo
	v_cmpx_ne_u32_e64 v21, v12
	s_cbranch_execz .LBB34_51
; %bb.59:                               ;   in Loop: Header=BB34_55 Depth=3
	v_add_nc_u32_e32 v14, 2, v15
	s_mov_b32 s38, -1
	s_mov_b32 s37, -1
	s_mov_b32 s36, exec_lo
	s_delay_alu instid0(VALU_DEP_1) | instskip(NEXT) | instid1(VALU_DEP_1)
	v_and_b32_e32 v14, 0x7f, v14
	v_lshl_add_u32 v21, v14, 2, v18
	ds_load_b32 v21, v21
	s_wait_dscnt 0x0
	v_cmpx_ne_u32_e32 -1, v21
	s_cbranch_execz .LBB34_50
; %bb.60:                               ;   in Loop: Header=BB34_55 Depth=3
	s_mov_b32 s39, 0
	s_mov_b32 s37, exec_lo
	v_cmpx_ne_u32_e64 v21, v12
	s_cbranch_execz .LBB34_49
; %bb.61:                               ;   in Loop: Header=BB34_55 Depth=3
	v_add_nc_u32_e32 v14, 3, v15
	s_mov_b32 s40, -1
	s_mov_b32 s39, -1
	s_mov_b32 s38, exec_lo
	s_delay_alu instid0(VALU_DEP_1) | instskip(NEXT) | instid1(VALU_DEP_1)
	v_and_b32_e32 v14, 0x7f, v14
	v_lshl_add_u32 v15, v14, 2, v18
	ds_load_b32 v21, v15
                                        ; implicit-def: $vgpr15
	s_wait_dscnt 0x0
	v_cmpx_ne_u32_e32 -1, v21
	s_cbranch_execz .LBB34_48
; %bb.62:                               ;   in Loop: Header=BB34_55 Depth=3
	s_mov_b32 s39, 0
	s_mov_b32 s41, exec_lo
                                        ; implicit-def: $vgpr15
	v_cmpx_ne_u32_e64 v21, v12
	s_cbranch_execz .LBB34_47
; %bb.63:                               ;   in Loop: Header=BB34_55 Depth=3
	v_add_nc_u32_e32 v13, -4, v13
	v_add_nc_u32_e32 v15, 1, v14
	s_mov_b32 s39, exec_lo
	s_delay_alu instid0(VALU_DEP_2)
	v_cmp_eq_u32_e32 vcc_lo, 0, v13
	s_or_not1_b32 s40, vcc_lo, exec_lo
	s_branch .LBB34_47
.LBB34_64:                              ;   in Loop: Header=BB34_46 Depth=2
	s_or_b32 exec_lo, exec_lo, s25
	s_xor_b32 s25, s26, -1
	s_wait_alu 0xfffe
	s_and_saveexec_b32 s26, s25
	s_delay_alu instid0(SALU_CYCLE_1)
	s_xor_b32 s25, exec_lo, s26
	s_cbranch_execz .LBB34_45
; %bb.65:                               ;   in Loop: Header=BB34_46 Depth=2
	v_lshl_add_u32 v12, v14, 2, v0
	v_lshlrev_b64_e32 v[14:15], 3, v[8:9]
	ds_load_b32 v12, v12
	v_add_co_u32 v14, vcc_lo, s8, v14
	s_wait_alu 0xfffd
	v_add_co_ci_u32_e64 v15, null, s9, v15, vcc_lo
	s_wait_dscnt 0x0
	v_ashrrev_i32_e32 v13, 31, v12
	s_delay_alu instid0(VALU_DEP_1) | instskip(NEXT) | instid1(VALU_DEP_1)
	v_lshlrev_b64_e32 v[12:13], 3, v[12:13]
	v_add_co_u32 v12, vcc_lo, s8, v12
	s_wait_alu 0xfffd
	s_delay_alu instid0(VALU_DEP_2)
	v_add_co_ci_u32_e64 v13, null, s9, v13, vcc_lo
	s_clause 0x1
	global_load_b64 v[14:15], v[14:15], off
	global_load_b64 v[21:22], v[12:13], off
	s_wait_loadcnt 0x0
	v_fma_f32 v21, -v10, v14, v21
	v_fma_f32 v9, -v11, v14, v22
	s_delay_alu instid0(VALU_DEP_2) | instskip(NEXT) | instid1(VALU_DEP_2)
	v_fmac_f32_e32 v21, v11, v15
	v_fma_f32 v22, -v10, v15, v9
	global_store_b64 v[12:13], v[21:22], off
	s_branch .LBB34_45
.LBB34_66:
	s_or_b32 exec_lo, exec_lo, s14
	s_delay_alu instid0(SALU_CYCLE_1)
	s_mov_b32 s4, exec_lo
	s_wait_loadcnt 0x0
	s_wait_storecnt 0x0
	global_inv scope:SCOPE_SE
	v_cmpx_lt_i32_e32 -1, v6
	s_cbranch_execz .LBB34_88
; %bb.67:
	v_mov_b32_e32 v7, 0
	s_mov_b32 s2, exec_lo
	s_delay_alu instid0(VALU_DEP_1) | instskip(NEXT) | instid1(VALU_DEP_1)
	v_lshlrev_b64_e32 v[8:9], 3, v[6:7]
	v_add_co_u32 v10, vcc_lo, s8, v8
	s_wait_alu 0xfffd
	s_delay_alu instid0(VALU_DEP_2)
	v_add_co_ci_u32_e64 v11, null, s9, v9, vcc_lo
	global_load_b64 v[8:9], v[10:11], off
	s_wait_loadcnt 0x0
	v_cmp_gt_f32_e32 vcc_lo, 0, v8
	s_wait_alu 0xfffd
	v_cndmask_b32_e64 v0, v8, -v8, vcc_lo
	v_cmp_gt_f32_e32 vcc_lo, 0, v9
	s_wait_alu 0xfffd
	v_cndmask_b32_e64 v6, v9, -v9, vcc_lo
	s_delay_alu instid0(VALU_DEP_1)
	v_cmpx_ngt_f32_e32 v0, v6
	s_wait_alu 0xfffe
	s_xor_b32 s5, exec_lo, s2
	s_cbranch_execz .LBB34_71
; %bb.68:
	s_mov_b32 s6, exec_lo
	v_cmpx_neq_f32_e32 0, v9
	s_cbranch_execz .LBB34_70
; %bb.69:
	v_div_scale_f32 v7, null, v6, v6, v0
	v_div_scale_f32 v14, vcc_lo, v0, v6, v0
	s_delay_alu instid0(VALU_DEP_2) | instskip(NEXT) | instid1(TRANS32_DEP_1)
	v_rcp_f32_e32 v12, v7
	v_fma_f32 v13, -v7, v12, 1.0
	s_delay_alu instid0(VALU_DEP_1) | instskip(NEXT) | instid1(VALU_DEP_1)
	v_fmac_f32_e32 v12, v13, v12
	v_mul_f32_e32 v13, v14, v12
	s_delay_alu instid0(VALU_DEP_1) | instskip(NEXT) | instid1(VALU_DEP_1)
	v_fma_f32 v15, -v7, v13, v14
	v_fmac_f32_e32 v13, v15, v12
	s_delay_alu instid0(VALU_DEP_1) | instskip(SKIP_1) | instid1(VALU_DEP_1)
	v_fma_f32 v7, -v7, v13, v14
	s_wait_alu 0xfffd
	v_div_fmas_f32 v7, v7, v12, v13
	s_delay_alu instid0(VALU_DEP_1) | instskip(NEXT) | instid1(VALU_DEP_1)
	v_div_fixup_f32 v0, v7, v6, v0
	v_fma_f32 v0, v0, v0, 1.0
	s_delay_alu instid0(VALU_DEP_1) | instskip(SKIP_2) | instid1(VALU_DEP_2)
	v_mul_f32_e32 v7, 0x4f800000, v0
	v_cmp_gt_f32_e32 vcc_lo, 0xf800000, v0
	s_wait_alu 0xfffd
	v_cndmask_b32_e32 v0, v0, v7, vcc_lo
	s_delay_alu instid0(VALU_DEP_1) | instskip(NEXT) | instid1(TRANS32_DEP_1)
	v_sqrt_f32_e32 v7, v0
	v_add_nc_u32_e32 v12, -1, v7
	v_add_nc_u32_e32 v13, 1, v7
	s_delay_alu instid0(VALU_DEP_2) | instskip(NEXT) | instid1(VALU_DEP_2)
	v_fma_f32 v14, -v12, v7, v0
	v_fma_f32 v15, -v13, v7, v0
	s_delay_alu instid0(VALU_DEP_2) | instskip(SKIP_1) | instid1(VALU_DEP_1)
	v_cmp_ge_f32_e64 s2, 0, v14
	s_wait_alu 0xf1ff
	v_cndmask_b32_e64 v7, v7, v12, s2
	s_delay_alu instid0(VALU_DEP_3) | instskip(SKIP_1) | instid1(VALU_DEP_1)
	v_cmp_lt_f32_e64 s2, 0, v15
	s_wait_alu 0xf1ff
	v_cndmask_b32_e64 v7, v7, v13, s2
	s_delay_alu instid0(VALU_DEP_1) | instskip(NEXT) | instid1(VALU_DEP_1)
	v_mul_f32_e32 v12, 0x37800000, v7
	v_cndmask_b32_e32 v7, v7, v12, vcc_lo
	v_cmp_class_f32_e64 vcc_lo, v0, 0x260
	s_wait_alu 0xfffd
	s_delay_alu instid0(VALU_DEP_2) | instskip(NEXT) | instid1(VALU_DEP_1)
	v_cndmask_b32_e32 v0, v7, v0, vcc_lo
	v_mul_f32_e32 v7, v6, v0
.LBB34_70:
	s_wait_alu 0xfffe
	s_or_b32 exec_lo, exec_lo, s6
                                        ; implicit-def: $vgpr0
                                        ; implicit-def: $vgpr6
.LBB34_71:
	s_wait_alu 0xfffe
	s_and_not1_saveexec_b32 s5, s5
	s_cbranch_execz .LBB34_73
; %bb.72:
	v_div_scale_f32 v7, null, v0, v0, v6
	v_div_scale_f32 v14, vcc_lo, v6, v0, v6
	s_delay_alu instid0(VALU_DEP_2) | instskip(NEXT) | instid1(TRANS32_DEP_1)
	v_rcp_f32_e32 v12, v7
	v_fma_f32 v13, -v7, v12, 1.0
	s_delay_alu instid0(VALU_DEP_1) | instskip(NEXT) | instid1(VALU_DEP_1)
	v_fmac_f32_e32 v12, v13, v12
	v_mul_f32_e32 v13, v14, v12
	s_delay_alu instid0(VALU_DEP_1) | instskip(NEXT) | instid1(VALU_DEP_1)
	v_fma_f32 v15, -v7, v13, v14
	v_fmac_f32_e32 v13, v15, v12
	s_delay_alu instid0(VALU_DEP_1) | instskip(SKIP_1) | instid1(VALU_DEP_1)
	v_fma_f32 v7, -v7, v13, v14
	s_wait_alu 0xfffd
	v_div_fmas_f32 v7, v7, v12, v13
	s_delay_alu instid0(VALU_DEP_1) | instskip(NEXT) | instid1(VALU_DEP_1)
	v_div_fixup_f32 v6, v7, v0, v6
	v_fma_f32 v6, v6, v6, 1.0
	s_delay_alu instid0(VALU_DEP_1) | instskip(SKIP_2) | instid1(VALU_DEP_2)
	v_mul_f32_e32 v7, 0x4f800000, v6
	v_cmp_gt_f32_e32 vcc_lo, 0xf800000, v6
	s_wait_alu 0xfffd
	v_cndmask_b32_e32 v6, v6, v7, vcc_lo
	s_delay_alu instid0(VALU_DEP_1) | instskip(NEXT) | instid1(TRANS32_DEP_1)
	v_sqrt_f32_e32 v7, v6
	v_add_nc_u32_e32 v12, -1, v7
	v_add_nc_u32_e32 v13, 1, v7
	s_delay_alu instid0(VALU_DEP_2) | instskip(NEXT) | instid1(VALU_DEP_2)
	v_fma_f32 v14, -v12, v7, v6
	v_fma_f32 v15, -v13, v7, v6
	s_delay_alu instid0(VALU_DEP_2) | instskip(SKIP_1) | instid1(VALU_DEP_1)
	v_cmp_ge_f32_e64 s2, 0, v14
	s_wait_alu 0xf1ff
	v_cndmask_b32_e64 v7, v7, v12, s2
	s_delay_alu instid0(VALU_DEP_3) | instskip(SKIP_1) | instid1(VALU_DEP_1)
	v_cmp_lt_f32_e64 s2, 0, v15
	s_wait_alu 0xf1ff
	v_cndmask_b32_e64 v7, v7, v13, s2
	s_delay_alu instid0(VALU_DEP_1) | instskip(NEXT) | instid1(VALU_DEP_1)
	v_mul_f32_e32 v12, 0x37800000, v7
	v_cndmask_b32_e32 v7, v7, v12, vcc_lo
	v_cmp_class_f32_e64 vcc_lo, v6, 0x260
	s_wait_alu 0xfffd
	s_delay_alu instid0(VALU_DEP_2) | instskip(NEXT) | instid1(VALU_DEP_1)
	v_cndmask_b32_e32 v6, v7, v6, vcc_lo
	v_mul_f32_e32 v7, v0, v6
.LBB34_73:
	s_wait_alu 0xfffe
	s_or_b32 exec_lo, exec_lo, s5
	s_delay_alu instid0(VALU_DEP_1)
	v_cvt_f64_f32_e32 v[6:7], v7
	v_cmp_ne_u32_e32 vcc_lo, 1, v17
	v_cmp_eq_u32_e64 s2, 0, v16
	s_mov_b32 s5, -1
	s_cbranch_vccnz .LBB34_77
; %bb.74:
	v_cvt_f64_f32_e32 v[12:13], s29
	s_cmp_eq_u64 s[20:21], 8
	s_cselect_b32 vcc_lo, -1, 0
	s_wait_alu 0xfffe
	s_delay_alu instid0(VALU_DEP_1) | instskip(NEXT) | instid1(VALU_DEP_1)
	v_dual_cndmask_b32 v4, v13, v4 :: v_dual_cndmask_b32 v3, v12, v3
	v_cmp_ge_f64_e32 vcc_lo, v[3:4], v[6:7]
	s_and_b32 s6, s2, vcc_lo
	s_wait_alu 0xfffe
	s_and_saveexec_b32 s5, s6
	s_cbranch_execz .LBB34_76
; %bb.75:
	v_dual_mov_b32 v3, s3 :: v_dual_mov_b32 v4, s22
	global_store_b64 v[10:11], v[3:4], off
	s_wait_storecnt 0x0
	global_inv scope:SCOPE_DEV
.LBB34_76:
	s_wait_alu 0xfffe
	s_or_b32 exec_lo, exec_lo, s5
	s_mov_b32 s5, 0
.LBB34_77:
	s_wait_alu 0xfffe
	s_and_not1_b32 vcc_lo, exec_lo, s5
	s_wait_alu 0xfffe
	s_cbranch_vccnz .LBB34_88
; %bb.78:
	s_load_b64 s[0:1], s[0:1], 0x48
	v_add_nc_u32_e32 v0, s28, v5
	s_wait_kmcnt 0x0
	v_cmp_ge_f64_e32 vcc_lo, s[0:1], v[6:7]
	s_and_b32 s1, s2, vcc_lo
	s_wait_alu 0xfffe
	s_and_saveexec_b32 s0, s1
	s_cbranch_execz .LBB34_83
; %bb.79:
	s_mov_b32 s3, exec_lo
	s_brev_b32 s1, -2
.LBB34_80:                              ; =>This Inner Loop Header: Depth=1
	s_wait_alu 0xfffe
	s_ctz_i32_b32 s5, s3
	s_wait_alu 0xfffe
	v_readlane_b32 s6, v0, s5
	s_lshl_b32 s5, 1, s5
	s_wait_alu 0xfffe
	s_and_not1_b32 s3, s3, s5
	s_min_i32 s1, s1, s6
	s_wait_alu 0xfffe
	s_cmp_lg_u32 s3, 0
	s_cbranch_scc1 .LBB34_80
; %bb.81:
	v_mbcnt_lo_u32_b32 v3, exec_lo, 0
	s_mov_b32 s3, exec_lo
	s_delay_alu instid0(VALU_DEP_1)
	v_cmpx_eq_u32_e32 0, v3
	s_wait_alu 0xfffe
	s_xor_b32 s3, exec_lo, s3
	s_cbranch_execz .LBB34_83
; %bb.82:
	v_dual_mov_b32 v3, 0 :: v_dual_mov_b32 v4, s1
	global_atomic_min_i32 v3, v4, s[18:19] scope:SCOPE_DEV
.LBB34_83:
	s_wait_alu 0xfffe
	s_or_b32 exec_lo, exec_lo, s0
	v_cmp_eq_f32_e32 vcc_lo, 0, v8
	v_cmp_eq_f32_e64 s0, 0, v9
	s_and_b32 s0, vcc_lo, s0
	s_wait_alu 0xfffe
	s_and_b32 s0, s2, s0
	s_wait_alu 0xfffe
	s_and_b32 exec_lo, exec_lo, s0
	s_cbranch_execz .LBB34_88
; %bb.84:
	s_mov_b32 s1, exec_lo
	s_brev_b32 s0, -2
.LBB34_85:                              ; =>This Inner Loop Header: Depth=1
	s_wait_alu 0xfffe
	s_ctz_i32_b32 s2, s1
	s_wait_alu 0xfffe
	v_readlane_b32 s3, v0, s2
	s_lshl_b32 s2, 1, s2
	s_wait_alu 0xfffe
	s_and_not1_b32 s1, s1, s2
	s_min_i32 s0, s0, s3
	s_wait_alu 0xfffe
	s_cmp_lg_u32 s1, 0
	s_cbranch_scc1 .LBB34_85
; %bb.86:
	v_mbcnt_lo_u32_b32 v0, exec_lo, 0
	s_mov_b32 s1, exec_lo
	s_delay_alu instid0(VALU_DEP_1)
	v_cmpx_eq_u32_e32 0, v0
	s_wait_alu 0xfffe
	s_xor_b32 s1, exec_lo, s1
	s_cbranch_execz .LBB34_88
; %bb.87:
	v_dual_mov_b32 v0, 0 :: v_dual_mov_b32 v3, s0
	global_atomic_min_i32 v0, v3, s[16:17] scope:SCOPE_DEV
.LBB34_88:
	s_wait_alu 0xfffe
	s_or_b32 exec_lo, exec_lo, s4
	v_cmp_eq_u32_e32 vcc_lo, 0, v16
	s_wait_loadcnt 0x0
	s_wait_storecnt 0x0
	global_inv scope:SCOPE_DEV
	s_and_b32 exec_lo, exec_lo, vcc_lo
	s_cbranch_execz .LBB34_90
; %bb.89:
	v_add_co_u32 v0, vcc_lo, s12, v1
	s_wait_alu 0xfffd
	v_add_co_ci_u32_e64 v1, null, s13, v2, vcc_lo
	v_mov_b32_e32 v2, 1
	s_wait_loadcnt 0x0
	global_store_b32 v[0:1], v2, off scope:SCOPE_DEV
.LBB34_90:
	s_endpgm
	.section	.rodata,"a",@progbits
	.p2align	6, 0x0
	.amdhsa_kernel _ZN9rocsparseL12csrilu0_hashILj256ELj64ELj2E21rocsparse_complex_numIfEEEviPKiS4_PT2_S4_PiS4_S7_S7_d21rocsparse_index_base_imNS_24const_host_device_scalarIfEENS9_IdEENS9_IS5_EEb
		.amdhsa_group_segment_fixed_size 4096
		.amdhsa_private_segment_fixed_size 0
		.amdhsa_kernarg_size 124
		.amdhsa_user_sgpr_count 2
		.amdhsa_user_sgpr_dispatch_ptr 0
		.amdhsa_user_sgpr_queue_ptr 0
		.amdhsa_user_sgpr_kernarg_segment_ptr 1
		.amdhsa_user_sgpr_dispatch_id 0
		.amdhsa_user_sgpr_private_segment_size 0
		.amdhsa_wavefront_size32 1
		.amdhsa_uses_dynamic_stack 0
		.amdhsa_enable_private_segment 0
		.amdhsa_system_sgpr_workgroup_id_x 1
		.amdhsa_system_sgpr_workgroup_id_y 0
		.amdhsa_system_sgpr_workgroup_id_z 0
		.amdhsa_system_sgpr_workgroup_info 0
		.amdhsa_system_vgpr_workitem_id 0
		.amdhsa_next_free_vgpr 26
		.amdhsa_next_free_sgpr 42
		.amdhsa_reserve_vcc 1
		.amdhsa_float_round_mode_32 0
		.amdhsa_float_round_mode_16_64 0
		.amdhsa_float_denorm_mode_32 3
		.amdhsa_float_denorm_mode_16_64 3
		.amdhsa_fp16_overflow 0
		.amdhsa_workgroup_processor_mode 1
		.amdhsa_memory_ordered 1
		.amdhsa_forward_progress 1
		.amdhsa_inst_pref_size 32
		.amdhsa_round_robin_scheduling 0
		.amdhsa_exception_fp_ieee_invalid_op 0
		.amdhsa_exception_fp_denorm_src 0
		.amdhsa_exception_fp_ieee_div_zero 0
		.amdhsa_exception_fp_ieee_overflow 0
		.amdhsa_exception_fp_ieee_underflow 0
		.amdhsa_exception_fp_ieee_inexact 0
		.amdhsa_exception_int_div_zero 0
	.end_amdhsa_kernel
	.section	.text._ZN9rocsparseL12csrilu0_hashILj256ELj64ELj2E21rocsparse_complex_numIfEEEviPKiS4_PT2_S4_PiS4_S7_S7_d21rocsparse_index_base_imNS_24const_host_device_scalarIfEENS9_IdEENS9_IS5_EEb,"axG",@progbits,_ZN9rocsparseL12csrilu0_hashILj256ELj64ELj2E21rocsparse_complex_numIfEEEviPKiS4_PT2_S4_PiS4_S7_S7_d21rocsparse_index_base_imNS_24const_host_device_scalarIfEENS9_IdEENS9_IS5_EEb,comdat
.Lfunc_end34:
	.size	_ZN9rocsparseL12csrilu0_hashILj256ELj64ELj2E21rocsparse_complex_numIfEEEviPKiS4_PT2_S4_PiS4_S7_S7_d21rocsparse_index_base_imNS_24const_host_device_scalarIfEENS9_IdEENS9_IS5_EEb, .Lfunc_end34-_ZN9rocsparseL12csrilu0_hashILj256ELj64ELj2E21rocsparse_complex_numIfEEEviPKiS4_PT2_S4_PiS4_S7_S7_d21rocsparse_index_base_imNS_24const_host_device_scalarIfEENS9_IdEENS9_IS5_EEb
                                        ; -- End function
	.set _ZN9rocsparseL12csrilu0_hashILj256ELj64ELj2E21rocsparse_complex_numIfEEEviPKiS4_PT2_S4_PiS4_S7_S7_d21rocsparse_index_base_imNS_24const_host_device_scalarIfEENS9_IdEENS9_IS5_EEb.num_vgpr, 26
	.set _ZN9rocsparseL12csrilu0_hashILj256ELj64ELj2E21rocsparse_complex_numIfEEEviPKiS4_PT2_S4_PiS4_S7_S7_d21rocsparse_index_base_imNS_24const_host_device_scalarIfEENS9_IdEENS9_IS5_EEb.num_agpr, 0
	.set _ZN9rocsparseL12csrilu0_hashILj256ELj64ELj2E21rocsparse_complex_numIfEEEviPKiS4_PT2_S4_PiS4_S7_S7_d21rocsparse_index_base_imNS_24const_host_device_scalarIfEENS9_IdEENS9_IS5_EEb.numbered_sgpr, 42
	.set _ZN9rocsparseL12csrilu0_hashILj256ELj64ELj2E21rocsparse_complex_numIfEEEviPKiS4_PT2_S4_PiS4_S7_S7_d21rocsparse_index_base_imNS_24const_host_device_scalarIfEENS9_IdEENS9_IS5_EEb.num_named_barrier, 0
	.set _ZN9rocsparseL12csrilu0_hashILj256ELj64ELj2E21rocsparse_complex_numIfEEEviPKiS4_PT2_S4_PiS4_S7_S7_d21rocsparse_index_base_imNS_24const_host_device_scalarIfEENS9_IdEENS9_IS5_EEb.private_seg_size, 0
	.set _ZN9rocsparseL12csrilu0_hashILj256ELj64ELj2E21rocsparse_complex_numIfEEEviPKiS4_PT2_S4_PiS4_S7_S7_d21rocsparse_index_base_imNS_24const_host_device_scalarIfEENS9_IdEENS9_IS5_EEb.uses_vcc, 1
	.set _ZN9rocsparseL12csrilu0_hashILj256ELj64ELj2E21rocsparse_complex_numIfEEEviPKiS4_PT2_S4_PiS4_S7_S7_d21rocsparse_index_base_imNS_24const_host_device_scalarIfEENS9_IdEENS9_IS5_EEb.uses_flat_scratch, 0
	.set _ZN9rocsparseL12csrilu0_hashILj256ELj64ELj2E21rocsparse_complex_numIfEEEviPKiS4_PT2_S4_PiS4_S7_S7_d21rocsparse_index_base_imNS_24const_host_device_scalarIfEENS9_IdEENS9_IS5_EEb.has_dyn_sized_stack, 0
	.set _ZN9rocsparseL12csrilu0_hashILj256ELj64ELj2E21rocsparse_complex_numIfEEEviPKiS4_PT2_S4_PiS4_S7_S7_d21rocsparse_index_base_imNS_24const_host_device_scalarIfEENS9_IdEENS9_IS5_EEb.has_recursion, 0
	.set _ZN9rocsparseL12csrilu0_hashILj256ELj64ELj2E21rocsparse_complex_numIfEEEviPKiS4_PT2_S4_PiS4_S7_S7_d21rocsparse_index_base_imNS_24const_host_device_scalarIfEENS9_IdEENS9_IS5_EEb.has_indirect_call, 0
	.section	.AMDGPU.csdata,"",@progbits
; Kernel info:
; codeLenInByte = 3980
; TotalNumSgprs: 44
; NumVgprs: 26
; ScratchSize: 0
; MemoryBound: 0
; FloatMode: 240
; IeeeMode: 1
; LDSByteSize: 4096 bytes/workgroup (compile time only)
; SGPRBlocks: 0
; VGPRBlocks: 3
; NumSGPRsForWavesPerEU: 44
; NumVGPRsForWavesPerEU: 26
; Occupancy: 16
; WaveLimiterHint : 1
; COMPUTE_PGM_RSRC2:SCRATCH_EN: 0
; COMPUTE_PGM_RSRC2:USER_SGPR: 2
; COMPUTE_PGM_RSRC2:TRAP_HANDLER: 0
; COMPUTE_PGM_RSRC2:TGID_X_EN: 1
; COMPUTE_PGM_RSRC2:TGID_Y_EN: 0
; COMPUTE_PGM_RSRC2:TGID_Z_EN: 0
; COMPUTE_PGM_RSRC2:TIDIG_COMP_CNT: 0
	.section	.text._ZN9rocsparseL12csrilu0_hashILj256ELj64ELj4E21rocsparse_complex_numIfEEEviPKiS4_PT2_S4_PiS4_S7_S7_d21rocsparse_index_base_imNS_24const_host_device_scalarIfEENS9_IdEENS9_IS5_EEb,"axG",@progbits,_ZN9rocsparseL12csrilu0_hashILj256ELj64ELj4E21rocsparse_complex_numIfEEEviPKiS4_PT2_S4_PiS4_S7_S7_d21rocsparse_index_base_imNS_24const_host_device_scalarIfEENS9_IdEENS9_IS5_EEb,comdat
	.globl	_ZN9rocsparseL12csrilu0_hashILj256ELj64ELj4E21rocsparse_complex_numIfEEEviPKiS4_PT2_S4_PiS4_S7_S7_d21rocsparse_index_base_imNS_24const_host_device_scalarIfEENS9_IdEENS9_IS5_EEb ; -- Begin function _ZN9rocsparseL12csrilu0_hashILj256ELj64ELj4E21rocsparse_complex_numIfEEEviPKiS4_PT2_S4_PiS4_S7_S7_d21rocsparse_index_base_imNS_24const_host_device_scalarIfEENS9_IdEENS9_IS5_EEb
	.p2align	8
	.type	_ZN9rocsparseL12csrilu0_hashILj256ELj64ELj4E21rocsparse_complex_numIfEEEviPKiS4_PT2_S4_PiS4_S7_S7_d21rocsparse_index_base_imNS_24const_host_device_scalarIfEENS9_IdEENS9_IS5_EEb,@function
_ZN9rocsparseL12csrilu0_hashILj256ELj64ELj4E21rocsparse_complex_numIfEEEviPKiS4_PT2_S4_PiS4_S7_S7_d21rocsparse_index_base_imNS_24const_host_device_scalarIfEENS9_IdEENS9_IS5_EEb: ; @_ZN9rocsparseL12csrilu0_hashILj256ELj64ELj4E21rocsparse_complex_numIfEEEviPKiS4_PT2_S4_PiS4_S7_S7_d21rocsparse_index_base_imNS_24const_host_device_scalarIfEENS9_IdEENS9_IS5_EEb
; %bb.0:
	s_clause 0x2
	s_load_b32 s2, s[0:1], 0x78
	s_load_b64 s[28:29], s[0:1], 0x50
	s_load_b256 s[20:27], s[0:1], 0x58
	s_wait_kmcnt 0x0
	s_bitcmp1_b32 s2, 0
	s_cselect_b32 s4, -1, 0
	s_cmp_eq_u32 s29, 0
	s_cselect_b32 s2, -1, 0
	s_cmp_lg_u32 s29, 0
	s_cselect_b32 s5, -1, 0
	s_or_b32 s7, s2, s4
	s_delay_alu instid0(SALU_CYCLE_1)
	s_xor_b32 s6, s7, -1
	s_and_b32 s2, s2, exec_lo
	s_cselect_b32 s3, 0, s25
	s_cselect_b32 s2, 0, s24
	;; [unrolled: 1-line block ×3, first 2 shown]
	s_and_b32 vcc_lo, exec_lo, s7
	s_cbranch_vccnz .LBB35_2
; %bb.1:
	s_load_b32 s29, s[22:23], 0x0
	s_mov_b64 s[2:3], s[24:25]
.LBB35_2:
	s_delay_alu instid0(SALU_CYCLE_1)
	v_dual_mov_b32 v4, s3 :: v_dual_mov_b32 v3, s2
	s_and_not1_b32 vcc_lo, exec_lo, s6
	s_cbranch_vccnz .LBB35_4
; %bb.3:
	v_dual_mov_b32 v1, s24 :: v_dual_mov_b32 v2, s25
	flat_load_b64 v[3:4], v[1:2]
.LBB35_4:
	v_cndmask_b32_e64 v17, 0, 1, s5
	s_mov_b32 s3, 0
	s_and_not1_b32 vcc_lo, exec_lo, s5
	s_mov_b32 s22, 0
	s_cbranch_vccnz .LBB35_10
; %bb.5:
	s_xor_b32 s2, s4, -1
	s_mov_b32 s3, s26
	s_wait_alu 0xfffe
	v_cndmask_b32_e64 v1, 0, 1, s2
	s_and_not1_b32 vcc_lo, exec_lo, s2
	s_cbranch_vccnz .LBB35_7
; %bb.6:
	s_load_b32 s3, s[26:27], 0x0
.LBB35_7:
	s_delay_alu instid0(VALU_DEP_1)
	v_cmp_ne_u32_e32 vcc_lo, 1, v1
	s_cbranch_vccnz .LBB35_9
; %bb.8:
	s_load_b32 s27, s[26:27], 0x4
.LBB35_9:
	s_wait_kmcnt 0x0
	s_mov_b32 s22, s27
.LBB35_10:
	v_lshrrev_b32_e32 v1, 6, v0
	v_and_b32_e32 v16, 63, v0
	s_mov_b32 s2, 0
	s_delay_alu instid0(VALU_DEP_2) | instskip(NEXT) | instid1(VALU_DEP_2)
	v_lshlrev_b32_e32 v5, 10, v1
	v_lshlrev_b32_e32 v6, 2, v16
	v_or_b32_e32 v2, 0xffffffc0, v16
	s_delay_alu instid0(VALU_DEP_2)
	v_or3_b32 v5, v5, v6, 0x1000
	v_mov_b32_e32 v6, -1
.LBB35_11:                              ; =>This Inner Loop Header: Depth=1
	s_delay_alu instid0(VALU_DEP_3)
	v_add_nc_u32_e32 v2, 64, v2
	ds_store_b32 v5, v6
	v_add_nc_u32_e32 v5, 0x100, v5
	v_cmp_lt_u32_e32 vcc_lo, 0xbf, v2
	s_wait_alu 0xfffe
	s_or_b32 s2, vcc_lo, s2
	s_wait_alu 0xfffe
	s_and_not1_b32 exec_lo, exec_lo, s2
	s_cbranch_execnz .LBB35_11
; %bb.12:
	s_or_b32 exec_lo, exec_lo, s2
	s_load_b32 s2, s[0:1], 0x0
	s_lshl_b32 s4, ttmp9, 2
	s_wait_loadcnt_dscnt 0x0
	global_inv scope:SCOPE_SE
	s_wait_alu 0xfffe
	v_and_or_b32 v1, 0x3fffffc, s4, v1
	s_wait_kmcnt 0x0
	s_delay_alu instid0(VALU_DEP_1)
	v_cmp_gt_i32_e32 vcc_lo, s2, v1
	s_and_saveexec_b32 s2, vcc_lo
	s_cbranch_execz .LBB35_90
; %bb.13:
	s_load_b512 s[4:19], s[0:1], 0x8
	v_lshlrev_b32_e32 v1, 2, v1
	v_lshlrev_b32_e32 v0, 4, v0
	s_mov_b32 s2, exec_lo
	s_delay_alu instid0(VALU_DEP_1) | instskip(NEXT) | instid1(VALU_DEP_1)
	v_and_b32_e32 v0, 0xc00, v0
	v_or_b32_e32 v18, 0x1000, v0
	s_wait_kmcnt 0x0
	global_load_b32 v5, v1, s[14:15]
	s_wait_loadcnt 0x0
	v_ashrrev_i32_e32 v6, 31, v5
	s_delay_alu instid0(VALU_DEP_1) | instskip(NEXT) | instid1(VALU_DEP_1)
	v_lshlrev_b64_e32 v[1:2], 2, v[5:6]
	v_add_co_u32 v6, vcc_lo, s4, v1
	s_delay_alu instid0(VALU_DEP_1)
	v_add_co_ci_u32_e64 v7, null, s5, v2, vcc_lo
	v_add_co_u32 v9, vcc_lo, s10, v1
	s_wait_alu 0xfffd
	v_add_co_ci_u32_e64 v10, null, s11, v2, vcc_lo
	global_load_b64 v[7:8], v[6:7], off
	global_load_b32 v6, v[9:10], off
	s_wait_loadcnt 0x1
	v_subrev_nc_u32_e32 v7, s28, v7
	v_subrev_nc_u32_e32 v10, s28, v8
	s_delay_alu instid0(VALU_DEP_2) | instskip(NEXT) | instid1(VALU_DEP_1)
	v_add_nc_u32_e32 v8, v7, v16
	v_cmpx_lt_i32_e64 v8, v10
	s_cbranch_execz .LBB35_36
; %bb.14:
	v_mov_b32_e32 v11, -1
	s_mov_b32 s14, 0
	s_branch .LBB35_16
.LBB35_15:                              ;   in Loop: Header=BB35_16 Depth=1
	s_or_b32 exec_lo, exec_lo, s15
	v_add_nc_u32_e32 v8, 64, v8
	s_delay_alu instid0(VALU_DEP_1) | instskip(SKIP_1) | instid1(SALU_CYCLE_1)
	v_cmp_ge_i32_e32 vcc_lo, v8, v10
	s_or_b32 s14, vcc_lo, s14
	s_and_not1_b32 exec_lo, exec_lo, s14
	s_cbranch_execz .LBB35_36
.LBB35_16:                              ; =>This Loop Header: Depth=1
                                        ;     Child Loop BB35_25 Depth 2
	v_ashrrev_i32_e32 v9, 31, v8
	s_mov_b32 s15, 0
                                        ; implicit-def: $sgpr23
                                        ; implicit-def: $sgpr24
                                        ; implicit-def: $sgpr25
	s_delay_alu instid0(VALU_DEP_1) | instskip(NEXT) | instid1(VALU_DEP_1)
	v_lshlrev_b64_e32 v[12:13], 2, v[8:9]
	v_add_co_u32 v12, vcc_lo, s6, v12
	s_wait_alu 0xfffd
	s_delay_alu instid0(VALU_DEP_2)
	v_add_co_ci_u32_e64 v13, null, s7, v13, vcc_lo
	global_load_b32 v9, v[12:13], off
	v_mov_b32_e32 v12, 0x100
	s_wait_loadcnt 0x0
	v_mul_lo_u32 v14, 0x67, v9
	s_branch .LBB35_25
.LBB35_17:                              ;   in Loop: Header=BB35_25 Depth=2
	s_or_b32 exec_lo, exec_lo, s38
	s_delay_alu instid0(SALU_CYCLE_1)
	s_or_not1_b32 s36, s36, exec_lo
	s_or_not1_b32 s37, s37, exec_lo
.LBB35_18:                              ;   in Loop: Header=BB35_25 Depth=2
	s_or_b32 exec_lo, exec_lo, s35
	s_delay_alu instid0(SALU_CYCLE_1)
	s_and_b32 s36, s36, exec_lo
	s_or_not1_b32 s35, s37, exec_lo
.LBB35_19:                              ;   in Loop: Header=BB35_25 Depth=2
	s_or_b32 exec_lo, exec_lo, s34
	s_delay_alu instid0(SALU_CYCLE_1)
	s_or_not1_b32 s34, s36, exec_lo
	s_or_not1_b32 s35, s35, exec_lo
.LBB35_20:                              ;   in Loop: Header=BB35_25 Depth=2
	s_or_b32 exec_lo, exec_lo, s33
	s_delay_alu instid0(SALU_CYCLE_1)
	s_and_b32 s34, s34, exec_lo
	s_or_not1_b32 s33, s35, exec_lo
.LBB35_21:                              ;   in Loop: Header=BB35_25 Depth=2
	s_or_b32 exec_lo, exec_lo, s31
	s_delay_alu instid0(SALU_CYCLE_1)
	s_or_not1_b32 s31, s34, exec_lo
	s_or_not1_b32 s33, s33, exec_lo
.LBB35_22:                              ;   in Loop: Header=BB35_25 Depth=2
	s_or_b32 exec_lo, exec_lo, s30
	s_delay_alu instid0(SALU_CYCLE_1)
	s_and_b32 s31, s31, exec_lo
	s_or_not1_b32 s30, s33, exec_lo
.LBB35_23:                              ;   in Loop: Header=BB35_25 Depth=2
	s_or_b32 exec_lo, exec_lo, s27
	s_wait_alu 0xfffe
	s_and_not1_b32 s25, s25, exec_lo
	s_and_b32 s27, s31, exec_lo
	s_and_not1_b32 s24, s24, exec_lo
	s_and_b32 s30, s30, exec_lo
	s_wait_alu 0xfffe
	s_or_b32 s25, s25, s27
	s_or_b32 s24, s24, s30
.LBB35_24:                              ;   in Loop: Header=BB35_25 Depth=2
	s_or_b32 exec_lo, exec_lo, s26
	s_wait_alu 0xfffe
	s_and_b32 s26, exec_lo, s24
	s_delay_alu instid0(SALU_CYCLE_1) | instskip(SKIP_2) | instid1(SALU_CYCLE_1)
	s_or_b32 s15, s26, s15
	s_and_not1_b32 s23, s23, exec_lo
	s_and_b32 s26, s25, exec_lo
	s_or_b32 s23, s23, s26
	s_and_not1_b32 exec_lo, exec_lo, s15
	s_cbranch_execz .LBB35_34
.LBB35_25:                              ;   Parent Loop BB35_16 Depth=1
                                        ; =>  This Inner Loop Header: Depth=2
	s_delay_alu instid0(VALU_DEP_1) | instskip(SKIP_3) | instid1(VALU_DEP_1)
	v_and_b32_e32 v13, 0xff, v14
	s_or_b32 s25, s25, exec_lo
	s_or_b32 s24, s24, exec_lo
	s_mov_b32 s26, exec_lo
	v_lshl_add_u32 v15, v13, 2, v18
	ds_load_b32 v19, v15
	s_wait_dscnt 0x0
	v_cmpx_ne_u32_e64 v19, v9
	s_cbranch_execz .LBB35_24
; %bb.26:                               ;   in Loop: Header=BB35_25 Depth=2
	ds_cmpstore_rtn_b32 v15, v15, v9, v11
	s_mov_b32 s30, -1
	s_mov_b32 s31, 0
	s_mov_b32 s27, exec_lo
	s_wait_dscnt 0x0
	v_cmpx_ne_u32_e32 -1, v15
	s_cbranch_execz .LBB35_23
; %bb.27:                               ;   in Loop: Header=BB35_25 Depth=2
	v_add_nc_u32_e32 v13, 1, v14
	s_mov_b32 s33, -1
	s_mov_b32 s31, -1
	s_mov_b32 s30, exec_lo
	s_delay_alu instid0(VALU_DEP_1) | instskip(NEXT) | instid1(VALU_DEP_1)
	v_and_b32_e32 v13, 0xff, v13
	v_lshl_add_u32 v15, v13, 2, v18
	ds_load_b32 v19, v15
	s_wait_dscnt 0x0
	v_cmpx_ne_u32_e64 v19, v9
	s_cbranch_execz .LBB35_22
; %bb.28:                               ;   in Loop: Header=BB35_25 Depth=2
	ds_cmpstore_rtn_b32 v15, v15, v9, v11
	s_mov_b32 s34, 0
	s_mov_b32 s31, exec_lo
	s_wait_dscnt 0x0
	v_cmpx_ne_u32_e32 -1, v15
	s_cbranch_execz .LBB35_21
; %bb.29:                               ;   in Loop: Header=BB35_25 Depth=2
	v_add_nc_u32_e32 v13, 2, v14
	s_mov_b32 s35, -1
	s_mov_b32 s34, -1
	s_mov_b32 s33, exec_lo
	s_delay_alu instid0(VALU_DEP_1) | instskip(NEXT) | instid1(VALU_DEP_1)
	v_and_b32_e32 v13, 0xff, v13
	v_lshl_add_u32 v15, v13, 2, v18
	ds_load_b32 v19, v15
	s_wait_dscnt 0x0
	v_cmpx_ne_u32_e64 v19, v9
	s_cbranch_execz .LBB35_20
; %bb.30:                               ;   in Loop: Header=BB35_25 Depth=2
	ds_cmpstore_rtn_b32 v15, v15, v9, v11
	s_mov_b32 s36, 0
	s_mov_b32 s34, exec_lo
	s_wait_dscnt 0x0
	v_cmpx_ne_u32_e32 -1, v15
	s_cbranch_execz .LBB35_19
; %bb.31:                               ;   in Loop: Header=BB35_25 Depth=2
	v_add_nc_u32_e32 v13, 3, v14
	s_mov_b32 s37, -1
	s_mov_b32 s36, -1
	s_delay_alu instid0(VALU_DEP_1) | instskip(NEXT) | instid1(VALU_DEP_1)
	v_and_b32_e32 v13, 0xff, v13
	v_lshl_add_u32 v15, v13, 2, v18
	ds_load_b32 v14, v15
	s_wait_dscnt 0x0
	v_cmp_ne_u32_e32 vcc_lo, v14, v9
                                        ; implicit-def: $vgpr14
	s_and_saveexec_b32 s35, vcc_lo
	s_cbranch_execz .LBB35_18
; %bb.32:                               ;   in Loop: Header=BB35_25 Depth=2
	ds_cmpstore_rtn_b32 v14, v15, v9, v11
	s_mov_b32 s36, 0
	s_wait_dscnt 0x0
	v_cmp_ne_u32_e32 vcc_lo, -1, v14
                                        ; implicit-def: $vgpr14
	s_and_saveexec_b32 s38, vcc_lo
	s_cbranch_execz .LBB35_17
; %bb.33:                               ;   in Loop: Header=BB35_25 Depth=2
	v_add_nc_u32_e32 v12, -4, v12
	v_add_nc_u32_e32 v14, 1, v13
	s_mov_b32 s36, exec_lo
	s_delay_alu instid0(VALU_DEP_2)
	v_cmp_eq_u32_e32 vcc_lo, 0, v12
	s_or_not1_b32 s37, vcc_lo, exec_lo
	s_branch .LBB35_17
.LBB35_34:                              ;   in Loop: Header=BB35_16 Depth=1
	s_or_b32 exec_lo, exec_lo, s15
	s_xor_b32 s15, s23, -1
	s_delay_alu instid0(SALU_CYCLE_1) | instskip(NEXT) | instid1(SALU_CYCLE_1)
	s_and_saveexec_b32 s23, s15
	s_xor_b32 s15, exec_lo, s23
	s_cbranch_execz .LBB35_15
; %bb.35:                               ;   in Loop: Header=BB35_16 Depth=1
	v_lshl_add_u32 v9, v13, 2, v0
	ds_store_b32 v9, v8
	s_branch .LBB35_15
.LBB35_36:
	s_wait_alu 0xfffe
	s_or_b32 exec_lo, exec_lo, s2
	s_delay_alu instid0(SALU_CYCLE_1)
	s_mov_b32 s14, exec_lo
	s_wait_loadcnt_dscnt 0x0
	global_inv scope:SCOPE_SE
	v_cmpx_lt_i32_e64 v7, v6
	s_cbranch_execz .LBB35_66
; %bb.37:
	v_add_nc_u32_e32 v19, 1, v16
	s_mov_b32 s15, 0
	s_branch .LBB35_40
.LBB35_38:                              ;   in Loop: Header=BB35_40 Depth=1
	s_or_b32 exec_lo, exec_lo, s23
	v_add_nc_u32_e32 v7, 1, v7
	s_delay_alu instid0(VALU_DEP_1)
	v_cmp_ge_i32_e32 vcc_lo, v7, v6
	s_or_not1_b32 s23, vcc_lo, exec_lo
.LBB35_39:                              ;   in Loop: Header=BB35_40 Depth=1
	s_wait_alu 0xfffe
	s_or_b32 exec_lo, exec_lo, s2
	s_delay_alu instid0(SALU_CYCLE_1) | instskip(SKIP_2) | instid1(SALU_CYCLE_1)
	s_and_b32 s2, exec_lo, s23
	s_wait_alu 0xfffe
	s_or_b32 s15, s2, s15
	s_and_not1_b32 exec_lo, exec_lo, s15
	s_cbranch_execz .LBB35_66
.LBB35_40:                              ; =>This Loop Header: Depth=1
                                        ;     Child Loop BB35_41 Depth 2
                                        ;     Child Loop BB35_46 Depth 2
                                        ;       Child Loop BB35_55 Depth 3
	v_ashrrev_i32_e32 v8, 31, v7
	s_mov_b32 s2, 0
	s_delay_alu instid0(VALU_DEP_1) | instskip(SKIP_1) | instid1(VALU_DEP_2)
	v_lshlrev_b64_e32 v[9:10], 2, v[7:8]
	v_lshlrev_b64_e32 v[12:13], 3, v[7:8]
	v_add_co_u32 v9, vcc_lo, s6, v9
	s_wait_alu 0xfffd
	s_delay_alu instid0(VALU_DEP_3) | instskip(NEXT) | instid1(VALU_DEP_3)
	v_add_co_ci_u32_e64 v10, null, s7, v10, vcc_lo
	v_add_co_u32 v12, vcc_lo, s8, v12
	s_wait_alu 0xfffd
	v_add_co_ci_u32_e64 v13, null, s9, v13, vcc_lo
	global_load_b32 v9, v[9:10], off
	s_wait_loadcnt 0x0
	v_subrev_nc_u32_e32 v9, s28, v9
	s_delay_alu instid0(VALU_DEP_1) | instskip(NEXT) | instid1(VALU_DEP_1)
	v_ashrrev_i32_e32 v10, 31, v9
	v_lshlrev_b64_e32 v[10:11], 2, v[9:10]
	s_delay_alu instid0(VALU_DEP_1) | instskip(SKIP_1) | instid1(VALU_DEP_2)
	v_add_co_u32 v14, vcc_lo, s4, v10
	s_wait_alu 0xfffd
	v_add_co_ci_u32_e64 v15, null, s5, v11, vcc_lo
	v_add_co_u32 v20, vcc_lo, s10, v10
	s_wait_alu 0xfffd
	v_add_co_ci_u32_e64 v21, null, s11, v11, vcc_lo
	global_load_b64 v[8:9], v[12:13], off
	global_load_b32 v14, v[14:15], off offset:4
	global_load_b32 v15, v[20:21], off
	v_add_co_u32 v10, vcc_lo, s12, v10
	s_wait_alu 0xfffd
	v_add_co_ci_u32_e64 v11, null, s13, v11, vcc_lo
.LBB35_41:                              ;   Parent Loop BB35_40 Depth=1
                                        ; =>  This Inner Loop Header: Depth=2
	global_load_b32 v20, v[10:11], off scope:SCOPE_DEV
	s_wait_loadcnt 0x0
	v_cmp_ne_u32_e32 vcc_lo, 0, v20
	s_wait_alu 0xfffe
	s_or_b32 s2, vcc_lo, s2
	s_wait_alu 0xfffe
	s_and_not1_b32 exec_lo, exec_lo, s2
	s_cbranch_execnz .LBB35_41
; %bb.42:                               ;   in Loop: Header=BB35_40 Depth=1
	s_or_b32 exec_lo, exec_lo, s2
	v_subrev_nc_u32_e32 v20, s28, v14
	v_cmp_eq_u32_e32 vcc_lo, -1, v15
	global_inv scope:SCOPE_DEV
	s_mov_b32 s23, -1
	v_add_nc_u32_e32 v10, -1, v20
	s_wait_alu 0xfffd
	s_delay_alu instid0(VALU_DEP_1) | instskip(NEXT) | instid1(VALU_DEP_1)
	v_cndmask_b32_e32 v10, v15, v10, vcc_lo
	v_ashrrev_i32_e32 v11, 31, v10
	s_delay_alu instid0(VALU_DEP_1) | instskip(NEXT) | instid1(VALU_DEP_1)
	v_lshlrev_b64_e32 v[14:15], 3, v[10:11]
	v_add_co_u32 v14, vcc_lo, s8, v14
	s_wait_alu 0xfffd
	s_delay_alu instid0(VALU_DEP_2)
	v_add_co_ci_u32_e64 v15, null, s9, v15, vcc_lo
	global_load_b64 v[14:15], v[14:15], off
	s_wait_loadcnt 0x0
	v_cmp_neq_f32_e32 vcc_lo, 0, v14
	v_cmp_neq_f32_e64 s2, 0, v15
	s_or_b32 s24, vcc_lo, s2
	s_wait_alu 0xfffe
	s_and_saveexec_b32 s2, s24
	s_cbranch_execz .LBB35_39
; %bb.43:                               ;   in Loop: Header=BB35_40 Depth=1
	v_mul_f32_e32 v11, v15, v15
	s_mov_b32 s23, exec_lo
	s_delay_alu instid0(VALU_DEP_1) | instskip(NEXT) | instid1(VALU_DEP_1)
	v_fmac_f32_e32 v11, v14, v14
	v_div_scale_f32 v21, null, v11, v11, 1.0
	v_div_scale_f32 v24, vcc_lo, 1.0, v11, 1.0
	s_delay_alu instid0(VALU_DEP_2) | instskip(NEXT) | instid1(TRANS32_DEP_1)
	v_rcp_f32_e32 v22, v21
	v_fma_f32 v23, -v21, v22, 1.0
	s_delay_alu instid0(VALU_DEP_1) | instskip(NEXT) | instid1(VALU_DEP_1)
	v_fmac_f32_e32 v22, v23, v22
	v_mul_f32_e32 v23, v24, v22
	s_delay_alu instid0(VALU_DEP_1) | instskip(NEXT) | instid1(VALU_DEP_1)
	v_fma_f32 v25, -v21, v23, v24
	v_fmac_f32_e32 v23, v25, v22
	s_delay_alu instid0(VALU_DEP_1) | instskip(SKIP_3) | instid1(VALU_DEP_3)
	v_fma_f32 v21, -v21, v23, v24
	v_mul_f32_e32 v24, v9, v15
	v_mul_f32_e64 v15, v15, -v8
	s_wait_alu 0xfffd
	v_div_fmas_f32 v21, v21, v22, v23
	s_delay_alu instid0(VALU_DEP_3) | instskip(NEXT) | instid1(VALU_DEP_3)
	v_fmac_f32_e32 v24, v8, v14
	v_fmac_f32_e32 v15, v9, v14
	v_add_nc_u32_e32 v8, v19, v10
	s_delay_alu instid0(VALU_DEP_4) | instskip(NEXT) | instid1(VALU_DEP_1)
	v_div_fixup_f32 v11, v21, v11, 1.0
	v_mul_f32_e32 v10, v24, v11
	s_delay_alu instid0(VALU_DEP_4)
	v_mul_f32_e32 v11, v15, v11
	global_store_b64 v[12:13], v[10:11], off
	v_cmpx_lt_i32_e64 v8, v20
	s_cbranch_execz .LBB35_38
; %bb.44:                               ;   in Loop: Header=BB35_40 Depth=1
	s_mov_b32 s24, 0
	s_branch .LBB35_46
.LBB35_45:                              ;   in Loop: Header=BB35_46 Depth=2
	s_wait_alu 0xfffe
	s_or_b32 exec_lo, exec_lo, s25
	v_add_nc_u32_e32 v8, 64, v8
	s_delay_alu instid0(VALU_DEP_1)
	v_cmp_ge_i32_e32 vcc_lo, v8, v20
	s_or_b32 s24, vcc_lo, s24
	s_wait_alu 0xfffe
	s_and_not1_b32 exec_lo, exec_lo, s24
	s_cbranch_execz .LBB35_38
.LBB35_46:                              ;   Parent Loop BB35_40 Depth=1
                                        ; =>  This Loop Header: Depth=2
                                        ;       Child Loop BB35_55 Depth 3
	v_ashrrev_i32_e32 v9, 31, v8
	s_mov_b32 s25, 0
                                        ; implicit-def: $sgpr26
                                        ; implicit-def: $sgpr27
                                        ; implicit-def: $sgpr30
	s_delay_alu instid0(VALU_DEP_1) | instskip(NEXT) | instid1(VALU_DEP_1)
	v_lshlrev_b64_e32 v[12:13], 2, v[8:9]
	v_add_co_u32 v12, vcc_lo, s6, v12
	s_wait_alu 0xfffd
	s_delay_alu instid0(VALU_DEP_2)
	v_add_co_ci_u32_e64 v13, null, s7, v13, vcc_lo
	global_load_b32 v12, v[12:13], off
	v_mov_b32_e32 v13, 0x100
	s_wait_loadcnt 0x0
	v_mul_lo_u32 v15, 0x67, v12
	s_branch .LBB35_55
.LBB35_47:                              ;   in Loop: Header=BB35_55 Depth=3
	s_or_b32 exec_lo, exec_lo, s41
	s_delay_alu instid0(SALU_CYCLE_1)
	s_or_not1_b32 s39, s39, exec_lo
	s_or_not1_b32 s40, s40, exec_lo
.LBB35_48:                              ;   in Loop: Header=BB35_55 Depth=3
	s_or_b32 exec_lo, exec_lo, s38
	s_delay_alu instid0(SALU_CYCLE_1)
	s_and_b32 s39, s39, exec_lo
	s_or_not1_b32 s38, s40, exec_lo
.LBB35_49:                              ;   in Loop: Header=BB35_55 Depth=3
	s_or_b32 exec_lo, exec_lo, s37
	s_delay_alu instid0(SALU_CYCLE_1)
	s_or_not1_b32 s37, s39, exec_lo
	s_or_not1_b32 s38, s38, exec_lo
.LBB35_50:                              ;   in Loop: Header=BB35_55 Depth=3
	s_or_b32 exec_lo, exec_lo, s36
	s_delay_alu instid0(SALU_CYCLE_1)
	s_and_b32 s37, s37, exec_lo
	s_or_not1_b32 s36, s38, exec_lo
.LBB35_51:                              ;   in Loop: Header=BB35_55 Depth=3
	s_or_b32 exec_lo, exec_lo, s35
	s_delay_alu instid0(SALU_CYCLE_1)
	s_or_not1_b32 s35, s37, exec_lo
	s_or_not1_b32 s36, s36, exec_lo
.LBB35_52:                              ;   in Loop: Header=BB35_55 Depth=3
	s_or_b32 exec_lo, exec_lo, s34
	s_delay_alu instid0(SALU_CYCLE_1)
	s_and_b32 s35, s35, exec_lo
	s_or_not1_b32 s34, s36, exec_lo
.LBB35_53:                              ;   in Loop: Header=BB35_55 Depth=3
	s_or_b32 exec_lo, exec_lo, s33
	s_delay_alu instid0(SALU_CYCLE_1)
	s_and_not1_b32 s30, s30, exec_lo
	s_and_b32 s33, s35, exec_lo
	s_and_not1_b32 s27, s27, exec_lo
	s_and_b32 s34, s34, exec_lo
	s_or_b32 s30, s30, s33
	s_or_b32 s27, s27, s34
.LBB35_54:                              ;   in Loop: Header=BB35_55 Depth=3
	s_or_b32 exec_lo, exec_lo, s31
	s_delay_alu instid0(SALU_CYCLE_1) | instskip(SKIP_4) | instid1(SALU_CYCLE_1)
	s_and_b32 s31, exec_lo, s27
	s_wait_alu 0xfffe
	s_or_b32 s25, s31, s25
	s_and_not1_b32 s26, s26, exec_lo
	s_and_b32 s31, s30, exec_lo
	s_or_b32 s26, s26, s31
	s_wait_alu 0xfffe
	s_and_not1_b32 exec_lo, exec_lo, s25
	s_cbranch_execz .LBB35_64
.LBB35_55:                              ;   Parent Loop BB35_40 Depth=1
                                        ;     Parent Loop BB35_46 Depth=2
                                        ; =>    This Inner Loop Header: Depth=3
	s_delay_alu instid0(VALU_DEP_1) | instskip(SKIP_3) | instid1(VALU_DEP_1)
	v_and_b32_e32 v14, 0xff, v15
	s_or_b32 s30, s30, exec_lo
	s_or_b32 s27, s27, exec_lo
	s_mov_b32 s31, exec_lo
	v_lshl_add_u32 v21, v14, 2, v18
	ds_load_b32 v21, v21
	s_wait_dscnt 0x0
	v_cmpx_ne_u32_e32 -1, v21
	s_cbranch_execz .LBB35_54
; %bb.56:                               ;   in Loop: Header=BB35_55 Depth=3
	s_mov_b32 s34, -1
	s_mov_b32 s35, 0
	s_mov_b32 s33, exec_lo
	v_cmpx_ne_u32_e64 v21, v12
	s_cbranch_execz .LBB35_53
; %bb.57:                               ;   in Loop: Header=BB35_55 Depth=3
	v_add_nc_u32_e32 v14, 1, v15
	s_mov_b32 s36, -1
	s_mov_b32 s35, -1
	s_mov_b32 s34, exec_lo
	s_delay_alu instid0(VALU_DEP_1) | instskip(NEXT) | instid1(VALU_DEP_1)
	v_and_b32_e32 v14, 0xff, v14
	v_lshl_add_u32 v21, v14, 2, v18
	ds_load_b32 v21, v21
	s_wait_dscnt 0x0
	v_cmpx_ne_u32_e32 -1, v21
	s_cbranch_execz .LBB35_52
; %bb.58:                               ;   in Loop: Header=BB35_55 Depth=3
	s_mov_b32 s37, 0
	s_mov_b32 s35, exec_lo
	v_cmpx_ne_u32_e64 v21, v12
	s_cbranch_execz .LBB35_51
; %bb.59:                               ;   in Loop: Header=BB35_55 Depth=3
	v_add_nc_u32_e32 v14, 2, v15
	s_mov_b32 s38, -1
	s_mov_b32 s37, -1
	s_mov_b32 s36, exec_lo
	s_delay_alu instid0(VALU_DEP_1) | instskip(NEXT) | instid1(VALU_DEP_1)
	v_and_b32_e32 v14, 0xff, v14
	v_lshl_add_u32 v21, v14, 2, v18
	ds_load_b32 v21, v21
	s_wait_dscnt 0x0
	v_cmpx_ne_u32_e32 -1, v21
	s_cbranch_execz .LBB35_50
; %bb.60:                               ;   in Loop: Header=BB35_55 Depth=3
	s_mov_b32 s39, 0
	s_mov_b32 s37, exec_lo
	v_cmpx_ne_u32_e64 v21, v12
	s_cbranch_execz .LBB35_49
; %bb.61:                               ;   in Loop: Header=BB35_55 Depth=3
	v_add_nc_u32_e32 v14, 3, v15
	s_mov_b32 s40, -1
	s_mov_b32 s39, -1
	s_mov_b32 s38, exec_lo
	s_delay_alu instid0(VALU_DEP_1) | instskip(NEXT) | instid1(VALU_DEP_1)
	v_and_b32_e32 v14, 0xff, v14
	v_lshl_add_u32 v15, v14, 2, v18
	ds_load_b32 v21, v15
                                        ; implicit-def: $vgpr15
	s_wait_dscnt 0x0
	v_cmpx_ne_u32_e32 -1, v21
	s_cbranch_execz .LBB35_48
; %bb.62:                               ;   in Loop: Header=BB35_55 Depth=3
	s_mov_b32 s39, 0
	s_mov_b32 s41, exec_lo
                                        ; implicit-def: $vgpr15
	v_cmpx_ne_u32_e64 v21, v12
	s_cbranch_execz .LBB35_47
; %bb.63:                               ;   in Loop: Header=BB35_55 Depth=3
	v_add_nc_u32_e32 v13, -4, v13
	v_add_nc_u32_e32 v15, 1, v14
	s_mov_b32 s39, exec_lo
	s_delay_alu instid0(VALU_DEP_2)
	v_cmp_eq_u32_e32 vcc_lo, 0, v13
	s_or_not1_b32 s40, vcc_lo, exec_lo
	s_branch .LBB35_47
.LBB35_64:                              ;   in Loop: Header=BB35_46 Depth=2
	s_or_b32 exec_lo, exec_lo, s25
	s_xor_b32 s25, s26, -1
	s_wait_alu 0xfffe
	s_and_saveexec_b32 s26, s25
	s_delay_alu instid0(SALU_CYCLE_1)
	s_xor_b32 s25, exec_lo, s26
	s_cbranch_execz .LBB35_45
; %bb.65:                               ;   in Loop: Header=BB35_46 Depth=2
	v_lshl_add_u32 v12, v14, 2, v0
	v_lshlrev_b64_e32 v[14:15], 3, v[8:9]
	ds_load_b32 v12, v12
	v_add_co_u32 v14, vcc_lo, s8, v14
	s_wait_alu 0xfffd
	v_add_co_ci_u32_e64 v15, null, s9, v15, vcc_lo
	s_wait_dscnt 0x0
	v_ashrrev_i32_e32 v13, 31, v12
	s_delay_alu instid0(VALU_DEP_1) | instskip(NEXT) | instid1(VALU_DEP_1)
	v_lshlrev_b64_e32 v[12:13], 3, v[12:13]
	v_add_co_u32 v12, vcc_lo, s8, v12
	s_wait_alu 0xfffd
	s_delay_alu instid0(VALU_DEP_2)
	v_add_co_ci_u32_e64 v13, null, s9, v13, vcc_lo
	s_clause 0x1
	global_load_b64 v[14:15], v[14:15], off
	global_load_b64 v[21:22], v[12:13], off
	s_wait_loadcnt 0x0
	v_fma_f32 v21, -v10, v14, v21
	v_fma_f32 v9, -v11, v14, v22
	s_delay_alu instid0(VALU_DEP_2) | instskip(NEXT) | instid1(VALU_DEP_2)
	v_fmac_f32_e32 v21, v11, v15
	v_fma_f32 v22, -v10, v15, v9
	global_store_b64 v[12:13], v[21:22], off
	s_branch .LBB35_45
.LBB35_66:
	s_or_b32 exec_lo, exec_lo, s14
	s_delay_alu instid0(SALU_CYCLE_1)
	s_mov_b32 s4, exec_lo
	s_wait_loadcnt 0x0
	s_wait_storecnt 0x0
	global_inv scope:SCOPE_SE
	v_cmpx_lt_i32_e32 -1, v6
	s_cbranch_execz .LBB35_88
; %bb.67:
	v_mov_b32_e32 v7, 0
	s_mov_b32 s2, exec_lo
	s_delay_alu instid0(VALU_DEP_1) | instskip(NEXT) | instid1(VALU_DEP_1)
	v_lshlrev_b64_e32 v[8:9], 3, v[6:7]
	v_add_co_u32 v10, vcc_lo, s8, v8
	s_wait_alu 0xfffd
	s_delay_alu instid0(VALU_DEP_2)
	v_add_co_ci_u32_e64 v11, null, s9, v9, vcc_lo
	global_load_b64 v[8:9], v[10:11], off
	s_wait_loadcnt 0x0
	v_cmp_gt_f32_e32 vcc_lo, 0, v8
	s_wait_alu 0xfffd
	v_cndmask_b32_e64 v0, v8, -v8, vcc_lo
	v_cmp_gt_f32_e32 vcc_lo, 0, v9
	s_wait_alu 0xfffd
	v_cndmask_b32_e64 v6, v9, -v9, vcc_lo
	s_delay_alu instid0(VALU_DEP_1)
	v_cmpx_ngt_f32_e32 v0, v6
	s_wait_alu 0xfffe
	s_xor_b32 s5, exec_lo, s2
	s_cbranch_execz .LBB35_71
; %bb.68:
	s_mov_b32 s6, exec_lo
	v_cmpx_neq_f32_e32 0, v9
	s_cbranch_execz .LBB35_70
; %bb.69:
	v_div_scale_f32 v7, null, v6, v6, v0
	v_div_scale_f32 v14, vcc_lo, v0, v6, v0
	s_delay_alu instid0(VALU_DEP_2) | instskip(NEXT) | instid1(TRANS32_DEP_1)
	v_rcp_f32_e32 v12, v7
	v_fma_f32 v13, -v7, v12, 1.0
	s_delay_alu instid0(VALU_DEP_1) | instskip(NEXT) | instid1(VALU_DEP_1)
	v_fmac_f32_e32 v12, v13, v12
	v_mul_f32_e32 v13, v14, v12
	s_delay_alu instid0(VALU_DEP_1) | instskip(NEXT) | instid1(VALU_DEP_1)
	v_fma_f32 v15, -v7, v13, v14
	v_fmac_f32_e32 v13, v15, v12
	s_delay_alu instid0(VALU_DEP_1) | instskip(SKIP_1) | instid1(VALU_DEP_1)
	v_fma_f32 v7, -v7, v13, v14
	s_wait_alu 0xfffd
	v_div_fmas_f32 v7, v7, v12, v13
	s_delay_alu instid0(VALU_DEP_1) | instskip(NEXT) | instid1(VALU_DEP_1)
	v_div_fixup_f32 v0, v7, v6, v0
	v_fma_f32 v0, v0, v0, 1.0
	s_delay_alu instid0(VALU_DEP_1) | instskip(SKIP_2) | instid1(VALU_DEP_2)
	v_mul_f32_e32 v7, 0x4f800000, v0
	v_cmp_gt_f32_e32 vcc_lo, 0xf800000, v0
	s_wait_alu 0xfffd
	v_cndmask_b32_e32 v0, v0, v7, vcc_lo
	s_delay_alu instid0(VALU_DEP_1) | instskip(NEXT) | instid1(TRANS32_DEP_1)
	v_sqrt_f32_e32 v7, v0
	v_add_nc_u32_e32 v12, -1, v7
	v_add_nc_u32_e32 v13, 1, v7
	s_delay_alu instid0(VALU_DEP_2) | instskip(NEXT) | instid1(VALU_DEP_2)
	v_fma_f32 v14, -v12, v7, v0
	v_fma_f32 v15, -v13, v7, v0
	s_delay_alu instid0(VALU_DEP_2) | instskip(SKIP_1) | instid1(VALU_DEP_1)
	v_cmp_ge_f32_e64 s2, 0, v14
	s_wait_alu 0xf1ff
	v_cndmask_b32_e64 v7, v7, v12, s2
	s_delay_alu instid0(VALU_DEP_3) | instskip(SKIP_1) | instid1(VALU_DEP_1)
	v_cmp_lt_f32_e64 s2, 0, v15
	s_wait_alu 0xf1ff
	v_cndmask_b32_e64 v7, v7, v13, s2
	s_delay_alu instid0(VALU_DEP_1) | instskip(NEXT) | instid1(VALU_DEP_1)
	v_mul_f32_e32 v12, 0x37800000, v7
	v_cndmask_b32_e32 v7, v7, v12, vcc_lo
	v_cmp_class_f32_e64 vcc_lo, v0, 0x260
	s_wait_alu 0xfffd
	s_delay_alu instid0(VALU_DEP_2) | instskip(NEXT) | instid1(VALU_DEP_1)
	v_cndmask_b32_e32 v0, v7, v0, vcc_lo
	v_mul_f32_e32 v7, v6, v0
.LBB35_70:
	s_wait_alu 0xfffe
	s_or_b32 exec_lo, exec_lo, s6
                                        ; implicit-def: $vgpr0
                                        ; implicit-def: $vgpr6
.LBB35_71:
	s_wait_alu 0xfffe
	s_and_not1_saveexec_b32 s5, s5
	s_cbranch_execz .LBB35_73
; %bb.72:
	v_div_scale_f32 v7, null, v0, v0, v6
	v_div_scale_f32 v14, vcc_lo, v6, v0, v6
	s_delay_alu instid0(VALU_DEP_2) | instskip(NEXT) | instid1(TRANS32_DEP_1)
	v_rcp_f32_e32 v12, v7
	v_fma_f32 v13, -v7, v12, 1.0
	s_delay_alu instid0(VALU_DEP_1) | instskip(NEXT) | instid1(VALU_DEP_1)
	v_fmac_f32_e32 v12, v13, v12
	v_mul_f32_e32 v13, v14, v12
	s_delay_alu instid0(VALU_DEP_1) | instskip(NEXT) | instid1(VALU_DEP_1)
	v_fma_f32 v15, -v7, v13, v14
	v_fmac_f32_e32 v13, v15, v12
	s_delay_alu instid0(VALU_DEP_1) | instskip(SKIP_1) | instid1(VALU_DEP_1)
	v_fma_f32 v7, -v7, v13, v14
	s_wait_alu 0xfffd
	v_div_fmas_f32 v7, v7, v12, v13
	s_delay_alu instid0(VALU_DEP_1) | instskip(NEXT) | instid1(VALU_DEP_1)
	v_div_fixup_f32 v6, v7, v0, v6
	v_fma_f32 v6, v6, v6, 1.0
	s_delay_alu instid0(VALU_DEP_1) | instskip(SKIP_2) | instid1(VALU_DEP_2)
	v_mul_f32_e32 v7, 0x4f800000, v6
	v_cmp_gt_f32_e32 vcc_lo, 0xf800000, v6
	s_wait_alu 0xfffd
	v_cndmask_b32_e32 v6, v6, v7, vcc_lo
	s_delay_alu instid0(VALU_DEP_1) | instskip(NEXT) | instid1(TRANS32_DEP_1)
	v_sqrt_f32_e32 v7, v6
	v_add_nc_u32_e32 v12, -1, v7
	v_add_nc_u32_e32 v13, 1, v7
	s_delay_alu instid0(VALU_DEP_2) | instskip(NEXT) | instid1(VALU_DEP_2)
	v_fma_f32 v14, -v12, v7, v6
	v_fma_f32 v15, -v13, v7, v6
	s_delay_alu instid0(VALU_DEP_2) | instskip(SKIP_1) | instid1(VALU_DEP_1)
	v_cmp_ge_f32_e64 s2, 0, v14
	s_wait_alu 0xf1ff
	v_cndmask_b32_e64 v7, v7, v12, s2
	s_delay_alu instid0(VALU_DEP_3) | instskip(SKIP_1) | instid1(VALU_DEP_1)
	v_cmp_lt_f32_e64 s2, 0, v15
	s_wait_alu 0xf1ff
	v_cndmask_b32_e64 v7, v7, v13, s2
	s_delay_alu instid0(VALU_DEP_1) | instskip(NEXT) | instid1(VALU_DEP_1)
	v_mul_f32_e32 v12, 0x37800000, v7
	v_cndmask_b32_e32 v7, v7, v12, vcc_lo
	v_cmp_class_f32_e64 vcc_lo, v6, 0x260
	s_wait_alu 0xfffd
	s_delay_alu instid0(VALU_DEP_2) | instskip(NEXT) | instid1(VALU_DEP_1)
	v_cndmask_b32_e32 v6, v7, v6, vcc_lo
	v_mul_f32_e32 v7, v0, v6
.LBB35_73:
	s_wait_alu 0xfffe
	s_or_b32 exec_lo, exec_lo, s5
	s_delay_alu instid0(VALU_DEP_1)
	v_cvt_f64_f32_e32 v[6:7], v7
	v_cmp_ne_u32_e32 vcc_lo, 1, v17
	v_cmp_eq_u32_e64 s2, 0, v16
	s_mov_b32 s5, -1
	s_cbranch_vccnz .LBB35_77
; %bb.74:
	v_cvt_f64_f32_e32 v[12:13], s29
	s_cmp_eq_u64 s[20:21], 8
	s_cselect_b32 vcc_lo, -1, 0
	s_wait_alu 0xfffe
	s_delay_alu instid0(VALU_DEP_1) | instskip(NEXT) | instid1(VALU_DEP_1)
	v_dual_cndmask_b32 v4, v13, v4 :: v_dual_cndmask_b32 v3, v12, v3
	v_cmp_ge_f64_e32 vcc_lo, v[3:4], v[6:7]
	s_and_b32 s6, s2, vcc_lo
	s_wait_alu 0xfffe
	s_and_saveexec_b32 s5, s6
	s_cbranch_execz .LBB35_76
; %bb.75:
	v_dual_mov_b32 v3, s3 :: v_dual_mov_b32 v4, s22
	global_store_b64 v[10:11], v[3:4], off
	s_wait_storecnt 0x0
	global_inv scope:SCOPE_DEV
.LBB35_76:
	s_wait_alu 0xfffe
	s_or_b32 exec_lo, exec_lo, s5
	s_mov_b32 s5, 0
.LBB35_77:
	s_wait_alu 0xfffe
	s_and_not1_b32 vcc_lo, exec_lo, s5
	s_wait_alu 0xfffe
	s_cbranch_vccnz .LBB35_88
; %bb.78:
	s_load_b64 s[0:1], s[0:1], 0x48
	v_add_nc_u32_e32 v0, s28, v5
	s_wait_kmcnt 0x0
	v_cmp_ge_f64_e32 vcc_lo, s[0:1], v[6:7]
	s_and_b32 s1, s2, vcc_lo
	s_wait_alu 0xfffe
	s_and_saveexec_b32 s0, s1
	s_cbranch_execz .LBB35_83
; %bb.79:
	s_mov_b32 s3, exec_lo
	s_brev_b32 s1, -2
.LBB35_80:                              ; =>This Inner Loop Header: Depth=1
	s_wait_alu 0xfffe
	s_ctz_i32_b32 s5, s3
	s_wait_alu 0xfffe
	v_readlane_b32 s6, v0, s5
	s_lshl_b32 s5, 1, s5
	s_wait_alu 0xfffe
	s_and_not1_b32 s3, s3, s5
	s_min_i32 s1, s1, s6
	s_wait_alu 0xfffe
	s_cmp_lg_u32 s3, 0
	s_cbranch_scc1 .LBB35_80
; %bb.81:
	v_mbcnt_lo_u32_b32 v3, exec_lo, 0
	s_mov_b32 s3, exec_lo
	s_delay_alu instid0(VALU_DEP_1)
	v_cmpx_eq_u32_e32 0, v3
	s_wait_alu 0xfffe
	s_xor_b32 s3, exec_lo, s3
	s_cbranch_execz .LBB35_83
; %bb.82:
	v_dual_mov_b32 v3, 0 :: v_dual_mov_b32 v4, s1
	global_atomic_min_i32 v3, v4, s[18:19] scope:SCOPE_DEV
.LBB35_83:
	s_wait_alu 0xfffe
	s_or_b32 exec_lo, exec_lo, s0
	v_cmp_eq_f32_e32 vcc_lo, 0, v8
	v_cmp_eq_f32_e64 s0, 0, v9
	s_and_b32 s0, vcc_lo, s0
	s_wait_alu 0xfffe
	s_and_b32 s0, s2, s0
	s_wait_alu 0xfffe
	s_and_b32 exec_lo, exec_lo, s0
	s_cbranch_execz .LBB35_88
; %bb.84:
	s_mov_b32 s1, exec_lo
	s_brev_b32 s0, -2
.LBB35_85:                              ; =>This Inner Loop Header: Depth=1
	s_wait_alu 0xfffe
	s_ctz_i32_b32 s2, s1
	s_wait_alu 0xfffe
	v_readlane_b32 s3, v0, s2
	s_lshl_b32 s2, 1, s2
	s_wait_alu 0xfffe
	s_and_not1_b32 s1, s1, s2
	s_min_i32 s0, s0, s3
	s_wait_alu 0xfffe
	s_cmp_lg_u32 s1, 0
	s_cbranch_scc1 .LBB35_85
; %bb.86:
	v_mbcnt_lo_u32_b32 v0, exec_lo, 0
	s_mov_b32 s1, exec_lo
	s_delay_alu instid0(VALU_DEP_1)
	v_cmpx_eq_u32_e32 0, v0
	s_wait_alu 0xfffe
	s_xor_b32 s1, exec_lo, s1
	s_cbranch_execz .LBB35_88
; %bb.87:
	v_dual_mov_b32 v0, 0 :: v_dual_mov_b32 v3, s0
	global_atomic_min_i32 v0, v3, s[16:17] scope:SCOPE_DEV
.LBB35_88:
	s_wait_alu 0xfffe
	s_or_b32 exec_lo, exec_lo, s4
	v_cmp_eq_u32_e32 vcc_lo, 0, v16
	s_wait_loadcnt 0x0
	s_wait_storecnt 0x0
	global_inv scope:SCOPE_DEV
	s_and_b32 exec_lo, exec_lo, vcc_lo
	s_cbranch_execz .LBB35_90
; %bb.89:
	v_add_co_u32 v0, vcc_lo, s12, v1
	s_wait_alu 0xfffd
	v_add_co_ci_u32_e64 v1, null, s13, v2, vcc_lo
	v_mov_b32_e32 v2, 1
	s_wait_loadcnt 0x0
	global_store_b32 v[0:1], v2, off scope:SCOPE_DEV
.LBB35_90:
	s_endpgm
	.section	.rodata,"a",@progbits
	.p2align	6, 0x0
	.amdhsa_kernel _ZN9rocsparseL12csrilu0_hashILj256ELj64ELj4E21rocsparse_complex_numIfEEEviPKiS4_PT2_S4_PiS4_S7_S7_d21rocsparse_index_base_imNS_24const_host_device_scalarIfEENS9_IdEENS9_IS5_EEb
		.amdhsa_group_segment_fixed_size 8192
		.amdhsa_private_segment_fixed_size 0
		.amdhsa_kernarg_size 124
		.amdhsa_user_sgpr_count 2
		.amdhsa_user_sgpr_dispatch_ptr 0
		.amdhsa_user_sgpr_queue_ptr 0
		.amdhsa_user_sgpr_kernarg_segment_ptr 1
		.amdhsa_user_sgpr_dispatch_id 0
		.amdhsa_user_sgpr_private_segment_size 0
		.amdhsa_wavefront_size32 1
		.amdhsa_uses_dynamic_stack 0
		.amdhsa_enable_private_segment 0
		.amdhsa_system_sgpr_workgroup_id_x 1
		.amdhsa_system_sgpr_workgroup_id_y 0
		.amdhsa_system_sgpr_workgroup_id_z 0
		.amdhsa_system_sgpr_workgroup_info 0
		.amdhsa_system_vgpr_workitem_id 0
		.amdhsa_next_free_vgpr 26
		.amdhsa_next_free_sgpr 42
		.amdhsa_reserve_vcc 1
		.amdhsa_float_round_mode_32 0
		.amdhsa_float_round_mode_16_64 0
		.amdhsa_float_denorm_mode_32 3
		.amdhsa_float_denorm_mode_16_64 3
		.amdhsa_fp16_overflow 0
		.amdhsa_workgroup_processor_mode 1
		.amdhsa_memory_ordered 1
		.amdhsa_forward_progress 1
		.amdhsa_inst_pref_size 32
		.amdhsa_round_robin_scheduling 0
		.amdhsa_exception_fp_ieee_invalid_op 0
		.amdhsa_exception_fp_denorm_src 0
		.amdhsa_exception_fp_ieee_div_zero 0
		.amdhsa_exception_fp_ieee_overflow 0
		.amdhsa_exception_fp_ieee_underflow 0
		.amdhsa_exception_fp_ieee_inexact 0
		.amdhsa_exception_int_div_zero 0
	.end_amdhsa_kernel
	.section	.text._ZN9rocsparseL12csrilu0_hashILj256ELj64ELj4E21rocsparse_complex_numIfEEEviPKiS4_PT2_S4_PiS4_S7_S7_d21rocsparse_index_base_imNS_24const_host_device_scalarIfEENS9_IdEENS9_IS5_EEb,"axG",@progbits,_ZN9rocsparseL12csrilu0_hashILj256ELj64ELj4E21rocsparse_complex_numIfEEEviPKiS4_PT2_S4_PiS4_S7_S7_d21rocsparse_index_base_imNS_24const_host_device_scalarIfEENS9_IdEENS9_IS5_EEb,comdat
.Lfunc_end35:
	.size	_ZN9rocsparseL12csrilu0_hashILj256ELj64ELj4E21rocsparse_complex_numIfEEEviPKiS4_PT2_S4_PiS4_S7_S7_d21rocsparse_index_base_imNS_24const_host_device_scalarIfEENS9_IdEENS9_IS5_EEb, .Lfunc_end35-_ZN9rocsparseL12csrilu0_hashILj256ELj64ELj4E21rocsparse_complex_numIfEEEviPKiS4_PT2_S4_PiS4_S7_S7_d21rocsparse_index_base_imNS_24const_host_device_scalarIfEENS9_IdEENS9_IS5_EEb
                                        ; -- End function
	.set _ZN9rocsparseL12csrilu0_hashILj256ELj64ELj4E21rocsparse_complex_numIfEEEviPKiS4_PT2_S4_PiS4_S7_S7_d21rocsparse_index_base_imNS_24const_host_device_scalarIfEENS9_IdEENS9_IS5_EEb.num_vgpr, 26
	.set _ZN9rocsparseL12csrilu0_hashILj256ELj64ELj4E21rocsparse_complex_numIfEEEviPKiS4_PT2_S4_PiS4_S7_S7_d21rocsparse_index_base_imNS_24const_host_device_scalarIfEENS9_IdEENS9_IS5_EEb.num_agpr, 0
	.set _ZN9rocsparseL12csrilu0_hashILj256ELj64ELj4E21rocsparse_complex_numIfEEEviPKiS4_PT2_S4_PiS4_S7_S7_d21rocsparse_index_base_imNS_24const_host_device_scalarIfEENS9_IdEENS9_IS5_EEb.numbered_sgpr, 42
	.set _ZN9rocsparseL12csrilu0_hashILj256ELj64ELj4E21rocsparse_complex_numIfEEEviPKiS4_PT2_S4_PiS4_S7_S7_d21rocsparse_index_base_imNS_24const_host_device_scalarIfEENS9_IdEENS9_IS5_EEb.num_named_barrier, 0
	.set _ZN9rocsparseL12csrilu0_hashILj256ELj64ELj4E21rocsparse_complex_numIfEEEviPKiS4_PT2_S4_PiS4_S7_S7_d21rocsparse_index_base_imNS_24const_host_device_scalarIfEENS9_IdEENS9_IS5_EEb.private_seg_size, 0
	.set _ZN9rocsparseL12csrilu0_hashILj256ELj64ELj4E21rocsparse_complex_numIfEEEviPKiS4_PT2_S4_PiS4_S7_S7_d21rocsparse_index_base_imNS_24const_host_device_scalarIfEENS9_IdEENS9_IS5_EEb.uses_vcc, 1
	.set _ZN9rocsparseL12csrilu0_hashILj256ELj64ELj4E21rocsparse_complex_numIfEEEviPKiS4_PT2_S4_PiS4_S7_S7_d21rocsparse_index_base_imNS_24const_host_device_scalarIfEENS9_IdEENS9_IS5_EEb.uses_flat_scratch, 0
	.set _ZN9rocsparseL12csrilu0_hashILj256ELj64ELj4E21rocsparse_complex_numIfEEEviPKiS4_PT2_S4_PiS4_S7_S7_d21rocsparse_index_base_imNS_24const_host_device_scalarIfEENS9_IdEENS9_IS5_EEb.has_dyn_sized_stack, 0
	.set _ZN9rocsparseL12csrilu0_hashILj256ELj64ELj4E21rocsparse_complex_numIfEEEviPKiS4_PT2_S4_PiS4_S7_S7_d21rocsparse_index_base_imNS_24const_host_device_scalarIfEENS9_IdEENS9_IS5_EEb.has_recursion, 0
	.set _ZN9rocsparseL12csrilu0_hashILj256ELj64ELj4E21rocsparse_complex_numIfEEEviPKiS4_PT2_S4_PiS4_S7_S7_d21rocsparse_index_base_imNS_24const_host_device_scalarIfEENS9_IdEENS9_IS5_EEb.has_indirect_call, 0
	.section	.AMDGPU.csdata,"",@progbits
; Kernel info:
; codeLenInByte = 3972
; TotalNumSgprs: 44
; NumVgprs: 26
; ScratchSize: 0
; MemoryBound: 0
; FloatMode: 240
; IeeeMode: 1
; LDSByteSize: 8192 bytes/workgroup (compile time only)
; SGPRBlocks: 0
; VGPRBlocks: 3
; NumSGPRsForWavesPerEU: 44
; NumVGPRsForWavesPerEU: 26
; Occupancy: 16
; WaveLimiterHint : 1
; COMPUTE_PGM_RSRC2:SCRATCH_EN: 0
; COMPUTE_PGM_RSRC2:USER_SGPR: 2
; COMPUTE_PGM_RSRC2:TRAP_HANDLER: 0
; COMPUTE_PGM_RSRC2:TGID_X_EN: 1
; COMPUTE_PGM_RSRC2:TGID_Y_EN: 0
; COMPUTE_PGM_RSRC2:TGID_Z_EN: 0
; COMPUTE_PGM_RSRC2:TIDIG_COMP_CNT: 0
	.section	.text._ZN9rocsparseL12csrilu0_hashILj256ELj64ELj8E21rocsparse_complex_numIfEEEviPKiS4_PT2_S4_PiS4_S7_S7_d21rocsparse_index_base_imNS_24const_host_device_scalarIfEENS9_IdEENS9_IS5_EEb,"axG",@progbits,_ZN9rocsparseL12csrilu0_hashILj256ELj64ELj8E21rocsparse_complex_numIfEEEviPKiS4_PT2_S4_PiS4_S7_S7_d21rocsparse_index_base_imNS_24const_host_device_scalarIfEENS9_IdEENS9_IS5_EEb,comdat
	.globl	_ZN9rocsparseL12csrilu0_hashILj256ELj64ELj8E21rocsparse_complex_numIfEEEviPKiS4_PT2_S4_PiS4_S7_S7_d21rocsparse_index_base_imNS_24const_host_device_scalarIfEENS9_IdEENS9_IS5_EEb ; -- Begin function _ZN9rocsparseL12csrilu0_hashILj256ELj64ELj8E21rocsparse_complex_numIfEEEviPKiS4_PT2_S4_PiS4_S7_S7_d21rocsparse_index_base_imNS_24const_host_device_scalarIfEENS9_IdEENS9_IS5_EEb
	.p2align	8
	.type	_ZN9rocsparseL12csrilu0_hashILj256ELj64ELj8E21rocsparse_complex_numIfEEEviPKiS4_PT2_S4_PiS4_S7_S7_d21rocsparse_index_base_imNS_24const_host_device_scalarIfEENS9_IdEENS9_IS5_EEb,@function
_ZN9rocsparseL12csrilu0_hashILj256ELj64ELj8E21rocsparse_complex_numIfEEEviPKiS4_PT2_S4_PiS4_S7_S7_d21rocsparse_index_base_imNS_24const_host_device_scalarIfEENS9_IdEENS9_IS5_EEb: ; @_ZN9rocsparseL12csrilu0_hashILj256ELj64ELj8E21rocsparse_complex_numIfEEEviPKiS4_PT2_S4_PiS4_S7_S7_d21rocsparse_index_base_imNS_24const_host_device_scalarIfEENS9_IdEENS9_IS5_EEb
; %bb.0:
	s_clause 0x2
	s_load_b32 s2, s[0:1], 0x78
	s_load_b64 s[28:29], s[0:1], 0x50
	s_load_b256 s[20:27], s[0:1], 0x58
	s_wait_kmcnt 0x0
	s_bitcmp1_b32 s2, 0
	s_cselect_b32 s4, -1, 0
	s_cmp_eq_u32 s29, 0
	s_cselect_b32 s2, -1, 0
	s_cmp_lg_u32 s29, 0
	s_cselect_b32 s5, -1, 0
	s_or_b32 s7, s2, s4
	s_delay_alu instid0(SALU_CYCLE_1)
	s_xor_b32 s6, s7, -1
	s_and_b32 s2, s2, exec_lo
	s_cselect_b32 s3, 0, s25
	s_cselect_b32 s2, 0, s24
	;; [unrolled: 1-line block ×3, first 2 shown]
	s_and_b32 vcc_lo, exec_lo, s7
	s_cbranch_vccnz .LBB36_2
; %bb.1:
	s_load_b32 s29, s[22:23], 0x0
	s_mov_b64 s[2:3], s[24:25]
.LBB36_2:
	s_delay_alu instid0(SALU_CYCLE_1)
	v_dual_mov_b32 v4, s3 :: v_dual_mov_b32 v3, s2
	s_and_not1_b32 vcc_lo, exec_lo, s6
	s_cbranch_vccnz .LBB36_4
; %bb.3:
	v_dual_mov_b32 v1, s24 :: v_dual_mov_b32 v2, s25
	flat_load_b64 v[3:4], v[1:2]
.LBB36_4:
	v_cndmask_b32_e64 v17, 0, 1, s5
	s_mov_b32 s3, 0
	s_and_not1_b32 vcc_lo, exec_lo, s5
	s_mov_b32 s22, 0
	s_cbranch_vccnz .LBB36_10
; %bb.5:
	s_xor_b32 s2, s4, -1
	s_mov_b32 s3, s26
	s_wait_alu 0xfffe
	v_cndmask_b32_e64 v1, 0, 1, s2
	s_and_not1_b32 vcc_lo, exec_lo, s2
	s_cbranch_vccnz .LBB36_7
; %bb.6:
	s_load_b32 s3, s[26:27], 0x0
.LBB36_7:
	s_delay_alu instid0(VALU_DEP_1)
	v_cmp_ne_u32_e32 vcc_lo, 1, v1
	s_cbranch_vccnz .LBB36_9
; %bb.8:
	s_load_b32 s27, s[26:27], 0x4
.LBB36_9:
	s_wait_kmcnt 0x0
	s_mov_b32 s22, s27
.LBB36_10:
	v_lshrrev_b32_e32 v1, 6, v0
	v_and_b32_e32 v16, 63, v0
	s_mov_b32 s2, 0
	s_delay_alu instid0(VALU_DEP_2) | instskip(NEXT) | instid1(VALU_DEP_2)
	v_lshlrev_b32_e32 v5, 11, v1
	v_lshlrev_b32_e32 v6, 2, v16
	v_or_b32_e32 v2, 0xffffffc0, v16
	s_delay_alu instid0(VALU_DEP_2)
	v_or3_b32 v5, v5, v6, 0x2000
	v_mov_b32_e32 v6, -1
.LBB36_11:                              ; =>This Inner Loop Header: Depth=1
	s_delay_alu instid0(VALU_DEP_3)
	v_add_nc_u32_e32 v2, 64, v2
	ds_store_b32 v5, v6
	v_add_nc_u32_e32 v5, 0x100, v5
	v_cmp_lt_u32_e32 vcc_lo, 0x1bf, v2
	s_wait_alu 0xfffe
	s_or_b32 s2, vcc_lo, s2
	s_wait_alu 0xfffe
	s_and_not1_b32 exec_lo, exec_lo, s2
	s_cbranch_execnz .LBB36_11
; %bb.12:
	s_or_b32 exec_lo, exec_lo, s2
	s_load_b32 s2, s[0:1], 0x0
	s_lshl_b32 s4, ttmp9, 2
	s_wait_loadcnt_dscnt 0x0
	global_inv scope:SCOPE_SE
	s_wait_alu 0xfffe
	v_and_or_b32 v1, 0x3fffffc, s4, v1
	s_wait_kmcnt 0x0
	s_delay_alu instid0(VALU_DEP_1)
	v_cmp_gt_i32_e32 vcc_lo, s2, v1
	s_and_saveexec_b32 s2, vcc_lo
	s_cbranch_execz .LBB36_90
; %bb.13:
	s_load_b512 s[4:19], s[0:1], 0x8
	v_lshlrev_b32_e32 v1, 2, v1
	v_lshlrev_b32_e32 v0, 5, v0
	s_mov_b32 s2, exec_lo
	s_delay_alu instid0(VALU_DEP_1) | instskip(NEXT) | instid1(VALU_DEP_1)
	v_and_b32_e32 v0, 0x1800, v0
	v_or_b32_e32 v18, 0x2000, v0
	s_wait_kmcnt 0x0
	global_load_b32 v5, v1, s[14:15]
	s_wait_loadcnt 0x0
	v_ashrrev_i32_e32 v6, 31, v5
	s_delay_alu instid0(VALU_DEP_1) | instskip(NEXT) | instid1(VALU_DEP_1)
	v_lshlrev_b64_e32 v[1:2], 2, v[5:6]
	v_add_co_u32 v6, vcc_lo, s4, v1
	s_delay_alu instid0(VALU_DEP_1)
	v_add_co_ci_u32_e64 v7, null, s5, v2, vcc_lo
	v_add_co_u32 v9, vcc_lo, s10, v1
	s_wait_alu 0xfffd
	v_add_co_ci_u32_e64 v10, null, s11, v2, vcc_lo
	global_load_b64 v[7:8], v[6:7], off
	global_load_b32 v6, v[9:10], off
	s_wait_loadcnt 0x1
	v_subrev_nc_u32_e32 v7, s28, v7
	v_subrev_nc_u32_e32 v10, s28, v8
	s_delay_alu instid0(VALU_DEP_2) | instskip(NEXT) | instid1(VALU_DEP_1)
	v_add_nc_u32_e32 v8, v7, v16
	v_cmpx_lt_i32_e64 v8, v10
	s_cbranch_execz .LBB36_36
; %bb.14:
	v_mov_b32_e32 v11, -1
	s_mov_b32 s14, 0
	s_branch .LBB36_16
.LBB36_15:                              ;   in Loop: Header=BB36_16 Depth=1
	s_or_b32 exec_lo, exec_lo, s15
	v_add_nc_u32_e32 v8, 64, v8
	s_delay_alu instid0(VALU_DEP_1) | instskip(SKIP_1) | instid1(SALU_CYCLE_1)
	v_cmp_ge_i32_e32 vcc_lo, v8, v10
	s_or_b32 s14, vcc_lo, s14
	s_and_not1_b32 exec_lo, exec_lo, s14
	s_cbranch_execz .LBB36_36
.LBB36_16:                              ; =>This Loop Header: Depth=1
                                        ;     Child Loop BB36_25 Depth 2
	v_ashrrev_i32_e32 v9, 31, v8
	s_mov_b32 s15, 0
                                        ; implicit-def: $sgpr23
                                        ; implicit-def: $sgpr24
                                        ; implicit-def: $sgpr25
	s_delay_alu instid0(VALU_DEP_1) | instskip(NEXT) | instid1(VALU_DEP_1)
	v_lshlrev_b64_e32 v[12:13], 2, v[8:9]
	v_add_co_u32 v12, vcc_lo, s6, v12
	s_wait_alu 0xfffd
	s_delay_alu instid0(VALU_DEP_2)
	v_add_co_ci_u32_e64 v13, null, s7, v13, vcc_lo
	global_load_b32 v9, v[12:13], off
	v_mov_b32_e32 v12, 0x200
	s_wait_loadcnt 0x0
	v_mul_lo_u32 v14, 0x67, v9
	s_branch .LBB36_25
.LBB36_17:                              ;   in Loop: Header=BB36_25 Depth=2
	s_or_b32 exec_lo, exec_lo, s38
	s_delay_alu instid0(SALU_CYCLE_1)
	s_or_not1_b32 s36, s36, exec_lo
	s_or_not1_b32 s37, s37, exec_lo
.LBB36_18:                              ;   in Loop: Header=BB36_25 Depth=2
	s_or_b32 exec_lo, exec_lo, s35
	s_delay_alu instid0(SALU_CYCLE_1)
	s_and_b32 s36, s36, exec_lo
	s_or_not1_b32 s35, s37, exec_lo
.LBB36_19:                              ;   in Loop: Header=BB36_25 Depth=2
	s_or_b32 exec_lo, exec_lo, s34
	s_delay_alu instid0(SALU_CYCLE_1)
	s_or_not1_b32 s34, s36, exec_lo
	s_or_not1_b32 s35, s35, exec_lo
.LBB36_20:                              ;   in Loop: Header=BB36_25 Depth=2
	s_or_b32 exec_lo, exec_lo, s33
	s_delay_alu instid0(SALU_CYCLE_1)
	s_and_b32 s34, s34, exec_lo
	s_or_not1_b32 s33, s35, exec_lo
.LBB36_21:                              ;   in Loop: Header=BB36_25 Depth=2
	s_or_b32 exec_lo, exec_lo, s31
	s_delay_alu instid0(SALU_CYCLE_1)
	s_or_not1_b32 s31, s34, exec_lo
	s_or_not1_b32 s33, s33, exec_lo
.LBB36_22:                              ;   in Loop: Header=BB36_25 Depth=2
	s_or_b32 exec_lo, exec_lo, s30
	s_delay_alu instid0(SALU_CYCLE_1)
	s_and_b32 s31, s31, exec_lo
	s_or_not1_b32 s30, s33, exec_lo
.LBB36_23:                              ;   in Loop: Header=BB36_25 Depth=2
	s_or_b32 exec_lo, exec_lo, s27
	s_wait_alu 0xfffe
	s_and_not1_b32 s25, s25, exec_lo
	s_and_b32 s27, s31, exec_lo
	s_and_not1_b32 s24, s24, exec_lo
	s_and_b32 s30, s30, exec_lo
	s_wait_alu 0xfffe
	s_or_b32 s25, s25, s27
	s_or_b32 s24, s24, s30
.LBB36_24:                              ;   in Loop: Header=BB36_25 Depth=2
	s_or_b32 exec_lo, exec_lo, s26
	s_wait_alu 0xfffe
	s_and_b32 s26, exec_lo, s24
	s_delay_alu instid0(SALU_CYCLE_1) | instskip(SKIP_2) | instid1(SALU_CYCLE_1)
	s_or_b32 s15, s26, s15
	s_and_not1_b32 s23, s23, exec_lo
	s_and_b32 s26, s25, exec_lo
	s_or_b32 s23, s23, s26
	s_and_not1_b32 exec_lo, exec_lo, s15
	s_cbranch_execz .LBB36_34
.LBB36_25:                              ;   Parent Loop BB36_16 Depth=1
                                        ; =>  This Inner Loop Header: Depth=2
	s_delay_alu instid0(VALU_DEP_1) | instskip(SKIP_3) | instid1(VALU_DEP_1)
	v_and_b32_e32 v13, 0x1ff, v14
	s_or_b32 s25, s25, exec_lo
	s_or_b32 s24, s24, exec_lo
	s_mov_b32 s26, exec_lo
	v_lshl_add_u32 v15, v13, 2, v18
	ds_load_b32 v19, v15
	s_wait_dscnt 0x0
	v_cmpx_ne_u32_e64 v19, v9
	s_cbranch_execz .LBB36_24
; %bb.26:                               ;   in Loop: Header=BB36_25 Depth=2
	ds_cmpstore_rtn_b32 v15, v15, v9, v11
	s_mov_b32 s30, -1
	s_mov_b32 s31, 0
	s_mov_b32 s27, exec_lo
	s_wait_dscnt 0x0
	v_cmpx_ne_u32_e32 -1, v15
	s_cbranch_execz .LBB36_23
; %bb.27:                               ;   in Loop: Header=BB36_25 Depth=2
	v_add_nc_u32_e32 v13, 1, v14
	s_mov_b32 s33, -1
	s_mov_b32 s31, -1
	s_mov_b32 s30, exec_lo
	s_delay_alu instid0(VALU_DEP_1) | instskip(NEXT) | instid1(VALU_DEP_1)
	v_and_b32_e32 v13, 0x1ff, v13
	v_lshl_add_u32 v15, v13, 2, v18
	ds_load_b32 v19, v15
	s_wait_dscnt 0x0
	v_cmpx_ne_u32_e64 v19, v9
	s_cbranch_execz .LBB36_22
; %bb.28:                               ;   in Loop: Header=BB36_25 Depth=2
	ds_cmpstore_rtn_b32 v15, v15, v9, v11
	s_mov_b32 s34, 0
	s_mov_b32 s31, exec_lo
	s_wait_dscnt 0x0
	v_cmpx_ne_u32_e32 -1, v15
	s_cbranch_execz .LBB36_21
; %bb.29:                               ;   in Loop: Header=BB36_25 Depth=2
	v_add_nc_u32_e32 v13, 2, v14
	s_mov_b32 s35, -1
	s_mov_b32 s34, -1
	s_mov_b32 s33, exec_lo
	s_delay_alu instid0(VALU_DEP_1) | instskip(NEXT) | instid1(VALU_DEP_1)
	v_and_b32_e32 v13, 0x1ff, v13
	v_lshl_add_u32 v15, v13, 2, v18
	ds_load_b32 v19, v15
	s_wait_dscnt 0x0
	v_cmpx_ne_u32_e64 v19, v9
	s_cbranch_execz .LBB36_20
; %bb.30:                               ;   in Loop: Header=BB36_25 Depth=2
	ds_cmpstore_rtn_b32 v15, v15, v9, v11
	s_mov_b32 s36, 0
	s_mov_b32 s34, exec_lo
	s_wait_dscnt 0x0
	v_cmpx_ne_u32_e32 -1, v15
	s_cbranch_execz .LBB36_19
; %bb.31:                               ;   in Loop: Header=BB36_25 Depth=2
	v_add_nc_u32_e32 v13, 3, v14
	s_mov_b32 s37, -1
	s_mov_b32 s36, -1
	s_delay_alu instid0(VALU_DEP_1) | instskip(NEXT) | instid1(VALU_DEP_1)
	v_and_b32_e32 v13, 0x1ff, v13
	v_lshl_add_u32 v15, v13, 2, v18
	ds_load_b32 v14, v15
	s_wait_dscnt 0x0
	v_cmp_ne_u32_e32 vcc_lo, v14, v9
                                        ; implicit-def: $vgpr14
	s_and_saveexec_b32 s35, vcc_lo
	s_cbranch_execz .LBB36_18
; %bb.32:                               ;   in Loop: Header=BB36_25 Depth=2
	ds_cmpstore_rtn_b32 v14, v15, v9, v11
	s_mov_b32 s36, 0
	s_wait_dscnt 0x0
	v_cmp_ne_u32_e32 vcc_lo, -1, v14
                                        ; implicit-def: $vgpr14
	s_and_saveexec_b32 s38, vcc_lo
	s_cbranch_execz .LBB36_17
; %bb.33:                               ;   in Loop: Header=BB36_25 Depth=2
	v_add_nc_u32_e32 v12, -4, v12
	v_add_nc_u32_e32 v14, 1, v13
	s_mov_b32 s36, exec_lo
	s_delay_alu instid0(VALU_DEP_2)
	v_cmp_eq_u32_e32 vcc_lo, 0, v12
	s_or_not1_b32 s37, vcc_lo, exec_lo
	s_branch .LBB36_17
.LBB36_34:                              ;   in Loop: Header=BB36_16 Depth=1
	s_or_b32 exec_lo, exec_lo, s15
	s_xor_b32 s15, s23, -1
	s_delay_alu instid0(SALU_CYCLE_1) | instskip(NEXT) | instid1(SALU_CYCLE_1)
	s_and_saveexec_b32 s23, s15
	s_xor_b32 s15, exec_lo, s23
	s_cbranch_execz .LBB36_15
; %bb.35:                               ;   in Loop: Header=BB36_16 Depth=1
	v_lshl_add_u32 v9, v13, 2, v0
	ds_store_b32 v9, v8
	s_branch .LBB36_15
.LBB36_36:
	s_wait_alu 0xfffe
	s_or_b32 exec_lo, exec_lo, s2
	s_delay_alu instid0(SALU_CYCLE_1)
	s_mov_b32 s14, exec_lo
	s_wait_loadcnt_dscnt 0x0
	global_inv scope:SCOPE_SE
	v_cmpx_lt_i32_e64 v7, v6
	s_cbranch_execz .LBB36_66
; %bb.37:
	v_add_nc_u32_e32 v19, 1, v16
	s_mov_b32 s15, 0
	s_branch .LBB36_40
.LBB36_38:                              ;   in Loop: Header=BB36_40 Depth=1
	s_or_b32 exec_lo, exec_lo, s23
	v_add_nc_u32_e32 v7, 1, v7
	s_delay_alu instid0(VALU_DEP_1)
	v_cmp_ge_i32_e32 vcc_lo, v7, v6
	s_or_not1_b32 s23, vcc_lo, exec_lo
.LBB36_39:                              ;   in Loop: Header=BB36_40 Depth=1
	s_wait_alu 0xfffe
	s_or_b32 exec_lo, exec_lo, s2
	s_delay_alu instid0(SALU_CYCLE_1) | instskip(SKIP_2) | instid1(SALU_CYCLE_1)
	s_and_b32 s2, exec_lo, s23
	s_wait_alu 0xfffe
	s_or_b32 s15, s2, s15
	s_and_not1_b32 exec_lo, exec_lo, s15
	s_cbranch_execz .LBB36_66
.LBB36_40:                              ; =>This Loop Header: Depth=1
                                        ;     Child Loop BB36_41 Depth 2
                                        ;     Child Loop BB36_46 Depth 2
                                        ;       Child Loop BB36_55 Depth 3
	v_ashrrev_i32_e32 v8, 31, v7
	s_mov_b32 s2, 0
	s_delay_alu instid0(VALU_DEP_1) | instskip(SKIP_1) | instid1(VALU_DEP_2)
	v_lshlrev_b64_e32 v[9:10], 2, v[7:8]
	v_lshlrev_b64_e32 v[12:13], 3, v[7:8]
	v_add_co_u32 v9, vcc_lo, s6, v9
	s_wait_alu 0xfffd
	s_delay_alu instid0(VALU_DEP_3) | instskip(NEXT) | instid1(VALU_DEP_3)
	v_add_co_ci_u32_e64 v10, null, s7, v10, vcc_lo
	v_add_co_u32 v12, vcc_lo, s8, v12
	s_wait_alu 0xfffd
	v_add_co_ci_u32_e64 v13, null, s9, v13, vcc_lo
	global_load_b32 v9, v[9:10], off
	s_wait_loadcnt 0x0
	v_subrev_nc_u32_e32 v9, s28, v9
	s_delay_alu instid0(VALU_DEP_1) | instskip(NEXT) | instid1(VALU_DEP_1)
	v_ashrrev_i32_e32 v10, 31, v9
	v_lshlrev_b64_e32 v[10:11], 2, v[9:10]
	s_delay_alu instid0(VALU_DEP_1) | instskip(SKIP_1) | instid1(VALU_DEP_2)
	v_add_co_u32 v14, vcc_lo, s4, v10
	s_wait_alu 0xfffd
	v_add_co_ci_u32_e64 v15, null, s5, v11, vcc_lo
	v_add_co_u32 v20, vcc_lo, s10, v10
	s_wait_alu 0xfffd
	v_add_co_ci_u32_e64 v21, null, s11, v11, vcc_lo
	global_load_b64 v[8:9], v[12:13], off
	global_load_b32 v14, v[14:15], off offset:4
	global_load_b32 v15, v[20:21], off
	v_add_co_u32 v10, vcc_lo, s12, v10
	s_wait_alu 0xfffd
	v_add_co_ci_u32_e64 v11, null, s13, v11, vcc_lo
.LBB36_41:                              ;   Parent Loop BB36_40 Depth=1
                                        ; =>  This Inner Loop Header: Depth=2
	global_load_b32 v20, v[10:11], off scope:SCOPE_DEV
	s_wait_loadcnt 0x0
	v_cmp_ne_u32_e32 vcc_lo, 0, v20
	s_wait_alu 0xfffe
	s_or_b32 s2, vcc_lo, s2
	s_wait_alu 0xfffe
	s_and_not1_b32 exec_lo, exec_lo, s2
	s_cbranch_execnz .LBB36_41
; %bb.42:                               ;   in Loop: Header=BB36_40 Depth=1
	s_or_b32 exec_lo, exec_lo, s2
	v_subrev_nc_u32_e32 v20, s28, v14
	v_cmp_eq_u32_e32 vcc_lo, -1, v15
	global_inv scope:SCOPE_DEV
	s_mov_b32 s23, -1
	v_add_nc_u32_e32 v10, -1, v20
	s_wait_alu 0xfffd
	s_delay_alu instid0(VALU_DEP_1) | instskip(NEXT) | instid1(VALU_DEP_1)
	v_cndmask_b32_e32 v10, v15, v10, vcc_lo
	v_ashrrev_i32_e32 v11, 31, v10
	s_delay_alu instid0(VALU_DEP_1) | instskip(NEXT) | instid1(VALU_DEP_1)
	v_lshlrev_b64_e32 v[14:15], 3, v[10:11]
	v_add_co_u32 v14, vcc_lo, s8, v14
	s_wait_alu 0xfffd
	s_delay_alu instid0(VALU_DEP_2)
	v_add_co_ci_u32_e64 v15, null, s9, v15, vcc_lo
	global_load_b64 v[14:15], v[14:15], off
	s_wait_loadcnt 0x0
	v_cmp_neq_f32_e32 vcc_lo, 0, v14
	v_cmp_neq_f32_e64 s2, 0, v15
	s_or_b32 s24, vcc_lo, s2
	s_wait_alu 0xfffe
	s_and_saveexec_b32 s2, s24
	s_cbranch_execz .LBB36_39
; %bb.43:                               ;   in Loop: Header=BB36_40 Depth=1
	v_mul_f32_e32 v11, v15, v15
	s_mov_b32 s23, exec_lo
	s_delay_alu instid0(VALU_DEP_1) | instskip(NEXT) | instid1(VALU_DEP_1)
	v_fmac_f32_e32 v11, v14, v14
	v_div_scale_f32 v21, null, v11, v11, 1.0
	v_div_scale_f32 v24, vcc_lo, 1.0, v11, 1.0
	s_delay_alu instid0(VALU_DEP_2) | instskip(NEXT) | instid1(TRANS32_DEP_1)
	v_rcp_f32_e32 v22, v21
	v_fma_f32 v23, -v21, v22, 1.0
	s_delay_alu instid0(VALU_DEP_1) | instskip(NEXT) | instid1(VALU_DEP_1)
	v_fmac_f32_e32 v22, v23, v22
	v_mul_f32_e32 v23, v24, v22
	s_delay_alu instid0(VALU_DEP_1) | instskip(NEXT) | instid1(VALU_DEP_1)
	v_fma_f32 v25, -v21, v23, v24
	v_fmac_f32_e32 v23, v25, v22
	s_delay_alu instid0(VALU_DEP_1) | instskip(SKIP_3) | instid1(VALU_DEP_3)
	v_fma_f32 v21, -v21, v23, v24
	v_mul_f32_e32 v24, v9, v15
	v_mul_f32_e64 v15, v15, -v8
	s_wait_alu 0xfffd
	v_div_fmas_f32 v21, v21, v22, v23
	s_delay_alu instid0(VALU_DEP_3) | instskip(NEXT) | instid1(VALU_DEP_3)
	v_fmac_f32_e32 v24, v8, v14
	v_fmac_f32_e32 v15, v9, v14
	v_add_nc_u32_e32 v8, v19, v10
	s_delay_alu instid0(VALU_DEP_4) | instskip(NEXT) | instid1(VALU_DEP_1)
	v_div_fixup_f32 v11, v21, v11, 1.0
	v_mul_f32_e32 v10, v24, v11
	s_delay_alu instid0(VALU_DEP_4)
	v_mul_f32_e32 v11, v15, v11
	global_store_b64 v[12:13], v[10:11], off
	v_cmpx_lt_i32_e64 v8, v20
	s_cbranch_execz .LBB36_38
; %bb.44:                               ;   in Loop: Header=BB36_40 Depth=1
	s_mov_b32 s24, 0
	s_branch .LBB36_46
.LBB36_45:                              ;   in Loop: Header=BB36_46 Depth=2
	s_wait_alu 0xfffe
	s_or_b32 exec_lo, exec_lo, s25
	v_add_nc_u32_e32 v8, 64, v8
	s_delay_alu instid0(VALU_DEP_1)
	v_cmp_ge_i32_e32 vcc_lo, v8, v20
	s_or_b32 s24, vcc_lo, s24
	s_wait_alu 0xfffe
	s_and_not1_b32 exec_lo, exec_lo, s24
	s_cbranch_execz .LBB36_38
.LBB36_46:                              ;   Parent Loop BB36_40 Depth=1
                                        ; =>  This Loop Header: Depth=2
                                        ;       Child Loop BB36_55 Depth 3
	v_ashrrev_i32_e32 v9, 31, v8
	s_mov_b32 s25, 0
                                        ; implicit-def: $sgpr26
                                        ; implicit-def: $sgpr27
                                        ; implicit-def: $sgpr30
	s_delay_alu instid0(VALU_DEP_1) | instskip(NEXT) | instid1(VALU_DEP_1)
	v_lshlrev_b64_e32 v[12:13], 2, v[8:9]
	v_add_co_u32 v12, vcc_lo, s6, v12
	s_wait_alu 0xfffd
	s_delay_alu instid0(VALU_DEP_2)
	v_add_co_ci_u32_e64 v13, null, s7, v13, vcc_lo
	global_load_b32 v12, v[12:13], off
	v_mov_b32_e32 v13, 0x200
	s_wait_loadcnt 0x0
	v_mul_lo_u32 v15, 0x67, v12
	s_branch .LBB36_55
.LBB36_47:                              ;   in Loop: Header=BB36_55 Depth=3
	s_or_b32 exec_lo, exec_lo, s41
	s_delay_alu instid0(SALU_CYCLE_1)
	s_or_not1_b32 s39, s39, exec_lo
	s_or_not1_b32 s40, s40, exec_lo
.LBB36_48:                              ;   in Loop: Header=BB36_55 Depth=3
	s_or_b32 exec_lo, exec_lo, s38
	s_delay_alu instid0(SALU_CYCLE_1)
	s_and_b32 s39, s39, exec_lo
	s_or_not1_b32 s38, s40, exec_lo
.LBB36_49:                              ;   in Loop: Header=BB36_55 Depth=3
	s_or_b32 exec_lo, exec_lo, s37
	s_delay_alu instid0(SALU_CYCLE_1)
	s_or_not1_b32 s37, s39, exec_lo
	s_or_not1_b32 s38, s38, exec_lo
.LBB36_50:                              ;   in Loop: Header=BB36_55 Depth=3
	s_or_b32 exec_lo, exec_lo, s36
	s_delay_alu instid0(SALU_CYCLE_1)
	s_and_b32 s37, s37, exec_lo
	s_or_not1_b32 s36, s38, exec_lo
.LBB36_51:                              ;   in Loop: Header=BB36_55 Depth=3
	s_or_b32 exec_lo, exec_lo, s35
	s_delay_alu instid0(SALU_CYCLE_1)
	s_or_not1_b32 s35, s37, exec_lo
	s_or_not1_b32 s36, s36, exec_lo
.LBB36_52:                              ;   in Loop: Header=BB36_55 Depth=3
	s_or_b32 exec_lo, exec_lo, s34
	s_delay_alu instid0(SALU_CYCLE_1)
	s_and_b32 s35, s35, exec_lo
	s_or_not1_b32 s34, s36, exec_lo
.LBB36_53:                              ;   in Loop: Header=BB36_55 Depth=3
	s_or_b32 exec_lo, exec_lo, s33
	s_delay_alu instid0(SALU_CYCLE_1)
	s_and_not1_b32 s30, s30, exec_lo
	s_and_b32 s33, s35, exec_lo
	s_and_not1_b32 s27, s27, exec_lo
	s_and_b32 s34, s34, exec_lo
	s_or_b32 s30, s30, s33
	s_or_b32 s27, s27, s34
.LBB36_54:                              ;   in Loop: Header=BB36_55 Depth=3
	s_or_b32 exec_lo, exec_lo, s31
	s_delay_alu instid0(SALU_CYCLE_1) | instskip(SKIP_4) | instid1(SALU_CYCLE_1)
	s_and_b32 s31, exec_lo, s27
	s_wait_alu 0xfffe
	s_or_b32 s25, s31, s25
	s_and_not1_b32 s26, s26, exec_lo
	s_and_b32 s31, s30, exec_lo
	s_or_b32 s26, s26, s31
	s_wait_alu 0xfffe
	s_and_not1_b32 exec_lo, exec_lo, s25
	s_cbranch_execz .LBB36_64
.LBB36_55:                              ;   Parent Loop BB36_40 Depth=1
                                        ;     Parent Loop BB36_46 Depth=2
                                        ; =>    This Inner Loop Header: Depth=3
	s_delay_alu instid0(VALU_DEP_1) | instskip(SKIP_3) | instid1(VALU_DEP_1)
	v_and_b32_e32 v14, 0x1ff, v15
	s_or_b32 s30, s30, exec_lo
	s_or_b32 s27, s27, exec_lo
	s_mov_b32 s31, exec_lo
	v_lshl_add_u32 v21, v14, 2, v18
	ds_load_b32 v21, v21
	s_wait_dscnt 0x0
	v_cmpx_ne_u32_e32 -1, v21
	s_cbranch_execz .LBB36_54
; %bb.56:                               ;   in Loop: Header=BB36_55 Depth=3
	s_mov_b32 s34, -1
	s_mov_b32 s35, 0
	s_mov_b32 s33, exec_lo
	v_cmpx_ne_u32_e64 v21, v12
	s_cbranch_execz .LBB36_53
; %bb.57:                               ;   in Loop: Header=BB36_55 Depth=3
	v_add_nc_u32_e32 v14, 1, v15
	s_mov_b32 s36, -1
	s_mov_b32 s35, -1
	s_mov_b32 s34, exec_lo
	s_delay_alu instid0(VALU_DEP_1) | instskip(NEXT) | instid1(VALU_DEP_1)
	v_and_b32_e32 v14, 0x1ff, v14
	v_lshl_add_u32 v21, v14, 2, v18
	ds_load_b32 v21, v21
	s_wait_dscnt 0x0
	v_cmpx_ne_u32_e32 -1, v21
	s_cbranch_execz .LBB36_52
; %bb.58:                               ;   in Loop: Header=BB36_55 Depth=3
	s_mov_b32 s37, 0
	s_mov_b32 s35, exec_lo
	v_cmpx_ne_u32_e64 v21, v12
	s_cbranch_execz .LBB36_51
; %bb.59:                               ;   in Loop: Header=BB36_55 Depth=3
	v_add_nc_u32_e32 v14, 2, v15
	s_mov_b32 s38, -1
	s_mov_b32 s37, -1
	s_mov_b32 s36, exec_lo
	s_delay_alu instid0(VALU_DEP_1) | instskip(NEXT) | instid1(VALU_DEP_1)
	v_and_b32_e32 v14, 0x1ff, v14
	v_lshl_add_u32 v21, v14, 2, v18
	ds_load_b32 v21, v21
	s_wait_dscnt 0x0
	v_cmpx_ne_u32_e32 -1, v21
	s_cbranch_execz .LBB36_50
; %bb.60:                               ;   in Loop: Header=BB36_55 Depth=3
	s_mov_b32 s39, 0
	s_mov_b32 s37, exec_lo
	v_cmpx_ne_u32_e64 v21, v12
	s_cbranch_execz .LBB36_49
; %bb.61:                               ;   in Loop: Header=BB36_55 Depth=3
	v_add_nc_u32_e32 v14, 3, v15
	s_mov_b32 s40, -1
	s_mov_b32 s39, -1
	s_mov_b32 s38, exec_lo
	s_delay_alu instid0(VALU_DEP_1) | instskip(NEXT) | instid1(VALU_DEP_1)
	v_and_b32_e32 v14, 0x1ff, v14
	v_lshl_add_u32 v15, v14, 2, v18
	ds_load_b32 v21, v15
                                        ; implicit-def: $vgpr15
	s_wait_dscnt 0x0
	v_cmpx_ne_u32_e32 -1, v21
	s_cbranch_execz .LBB36_48
; %bb.62:                               ;   in Loop: Header=BB36_55 Depth=3
	s_mov_b32 s39, 0
	s_mov_b32 s41, exec_lo
                                        ; implicit-def: $vgpr15
	v_cmpx_ne_u32_e64 v21, v12
	s_cbranch_execz .LBB36_47
; %bb.63:                               ;   in Loop: Header=BB36_55 Depth=3
	v_add_nc_u32_e32 v13, -4, v13
	v_add_nc_u32_e32 v15, 1, v14
	s_mov_b32 s39, exec_lo
	s_delay_alu instid0(VALU_DEP_2)
	v_cmp_eq_u32_e32 vcc_lo, 0, v13
	s_or_not1_b32 s40, vcc_lo, exec_lo
	s_branch .LBB36_47
.LBB36_64:                              ;   in Loop: Header=BB36_46 Depth=2
	s_or_b32 exec_lo, exec_lo, s25
	s_xor_b32 s25, s26, -1
	s_wait_alu 0xfffe
	s_and_saveexec_b32 s26, s25
	s_delay_alu instid0(SALU_CYCLE_1)
	s_xor_b32 s25, exec_lo, s26
	s_cbranch_execz .LBB36_45
; %bb.65:                               ;   in Loop: Header=BB36_46 Depth=2
	v_lshl_add_u32 v12, v14, 2, v0
	v_lshlrev_b64_e32 v[14:15], 3, v[8:9]
	ds_load_b32 v12, v12
	v_add_co_u32 v14, vcc_lo, s8, v14
	s_wait_alu 0xfffd
	v_add_co_ci_u32_e64 v15, null, s9, v15, vcc_lo
	s_wait_dscnt 0x0
	v_ashrrev_i32_e32 v13, 31, v12
	s_delay_alu instid0(VALU_DEP_1) | instskip(NEXT) | instid1(VALU_DEP_1)
	v_lshlrev_b64_e32 v[12:13], 3, v[12:13]
	v_add_co_u32 v12, vcc_lo, s8, v12
	s_wait_alu 0xfffd
	s_delay_alu instid0(VALU_DEP_2)
	v_add_co_ci_u32_e64 v13, null, s9, v13, vcc_lo
	s_clause 0x1
	global_load_b64 v[14:15], v[14:15], off
	global_load_b64 v[21:22], v[12:13], off
	s_wait_loadcnt 0x0
	v_fma_f32 v21, -v10, v14, v21
	v_fma_f32 v9, -v11, v14, v22
	s_delay_alu instid0(VALU_DEP_2) | instskip(NEXT) | instid1(VALU_DEP_2)
	v_fmac_f32_e32 v21, v11, v15
	v_fma_f32 v22, -v10, v15, v9
	global_store_b64 v[12:13], v[21:22], off
	s_branch .LBB36_45
.LBB36_66:
	s_or_b32 exec_lo, exec_lo, s14
	s_delay_alu instid0(SALU_CYCLE_1)
	s_mov_b32 s4, exec_lo
	s_wait_loadcnt 0x0
	s_wait_storecnt 0x0
	global_inv scope:SCOPE_SE
	v_cmpx_lt_i32_e32 -1, v6
	s_cbranch_execz .LBB36_88
; %bb.67:
	v_mov_b32_e32 v7, 0
	s_mov_b32 s2, exec_lo
	s_delay_alu instid0(VALU_DEP_1) | instskip(NEXT) | instid1(VALU_DEP_1)
	v_lshlrev_b64_e32 v[8:9], 3, v[6:7]
	v_add_co_u32 v10, vcc_lo, s8, v8
	s_wait_alu 0xfffd
	s_delay_alu instid0(VALU_DEP_2)
	v_add_co_ci_u32_e64 v11, null, s9, v9, vcc_lo
	global_load_b64 v[8:9], v[10:11], off
	s_wait_loadcnt 0x0
	v_cmp_gt_f32_e32 vcc_lo, 0, v8
	s_wait_alu 0xfffd
	v_cndmask_b32_e64 v0, v8, -v8, vcc_lo
	v_cmp_gt_f32_e32 vcc_lo, 0, v9
	s_wait_alu 0xfffd
	v_cndmask_b32_e64 v6, v9, -v9, vcc_lo
	s_delay_alu instid0(VALU_DEP_1)
	v_cmpx_ngt_f32_e32 v0, v6
	s_wait_alu 0xfffe
	s_xor_b32 s5, exec_lo, s2
	s_cbranch_execz .LBB36_71
; %bb.68:
	s_mov_b32 s6, exec_lo
	v_cmpx_neq_f32_e32 0, v9
	s_cbranch_execz .LBB36_70
; %bb.69:
	v_div_scale_f32 v7, null, v6, v6, v0
	v_div_scale_f32 v14, vcc_lo, v0, v6, v0
	s_delay_alu instid0(VALU_DEP_2) | instskip(NEXT) | instid1(TRANS32_DEP_1)
	v_rcp_f32_e32 v12, v7
	v_fma_f32 v13, -v7, v12, 1.0
	s_delay_alu instid0(VALU_DEP_1) | instskip(NEXT) | instid1(VALU_DEP_1)
	v_fmac_f32_e32 v12, v13, v12
	v_mul_f32_e32 v13, v14, v12
	s_delay_alu instid0(VALU_DEP_1) | instskip(NEXT) | instid1(VALU_DEP_1)
	v_fma_f32 v15, -v7, v13, v14
	v_fmac_f32_e32 v13, v15, v12
	s_delay_alu instid0(VALU_DEP_1) | instskip(SKIP_1) | instid1(VALU_DEP_1)
	v_fma_f32 v7, -v7, v13, v14
	s_wait_alu 0xfffd
	v_div_fmas_f32 v7, v7, v12, v13
	s_delay_alu instid0(VALU_DEP_1) | instskip(NEXT) | instid1(VALU_DEP_1)
	v_div_fixup_f32 v0, v7, v6, v0
	v_fma_f32 v0, v0, v0, 1.0
	s_delay_alu instid0(VALU_DEP_1) | instskip(SKIP_2) | instid1(VALU_DEP_2)
	v_mul_f32_e32 v7, 0x4f800000, v0
	v_cmp_gt_f32_e32 vcc_lo, 0xf800000, v0
	s_wait_alu 0xfffd
	v_cndmask_b32_e32 v0, v0, v7, vcc_lo
	s_delay_alu instid0(VALU_DEP_1) | instskip(NEXT) | instid1(TRANS32_DEP_1)
	v_sqrt_f32_e32 v7, v0
	v_add_nc_u32_e32 v12, -1, v7
	v_add_nc_u32_e32 v13, 1, v7
	s_delay_alu instid0(VALU_DEP_2) | instskip(NEXT) | instid1(VALU_DEP_2)
	v_fma_f32 v14, -v12, v7, v0
	v_fma_f32 v15, -v13, v7, v0
	s_delay_alu instid0(VALU_DEP_2) | instskip(SKIP_1) | instid1(VALU_DEP_1)
	v_cmp_ge_f32_e64 s2, 0, v14
	s_wait_alu 0xf1ff
	v_cndmask_b32_e64 v7, v7, v12, s2
	s_delay_alu instid0(VALU_DEP_3) | instskip(SKIP_1) | instid1(VALU_DEP_1)
	v_cmp_lt_f32_e64 s2, 0, v15
	s_wait_alu 0xf1ff
	v_cndmask_b32_e64 v7, v7, v13, s2
	s_delay_alu instid0(VALU_DEP_1) | instskip(NEXT) | instid1(VALU_DEP_1)
	v_mul_f32_e32 v12, 0x37800000, v7
	v_cndmask_b32_e32 v7, v7, v12, vcc_lo
	v_cmp_class_f32_e64 vcc_lo, v0, 0x260
	s_wait_alu 0xfffd
	s_delay_alu instid0(VALU_DEP_2) | instskip(NEXT) | instid1(VALU_DEP_1)
	v_cndmask_b32_e32 v0, v7, v0, vcc_lo
	v_mul_f32_e32 v7, v6, v0
.LBB36_70:
	s_wait_alu 0xfffe
	s_or_b32 exec_lo, exec_lo, s6
                                        ; implicit-def: $vgpr0
                                        ; implicit-def: $vgpr6
.LBB36_71:
	s_wait_alu 0xfffe
	s_and_not1_saveexec_b32 s5, s5
	s_cbranch_execz .LBB36_73
; %bb.72:
	v_div_scale_f32 v7, null, v0, v0, v6
	v_div_scale_f32 v14, vcc_lo, v6, v0, v6
	s_delay_alu instid0(VALU_DEP_2) | instskip(NEXT) | instid1(TRANS32_DEP_1)
	v_rcp_f32_e32 v12, v7
	v_fma_f32 v13, -v7, v12, 1.0
	s_delay_alu instid0(VALU_DEP_1) | instskip(NEXT) | instid1(VALU_DEP_1)
	v_fmac_f32_e32 v12, v13, v12
	v_mul_f32_e32 v13, v14, v12
	s_delay_alu instid0(VALU_DEP_1) | instskip(NEXT) | instid1(VALU_DEP_1)
	v_fma_f32 v15, -v7, v13, v14
	v_fmac_f32_e32 v13, v15, v12
	s_delay_alu instid0(VALU_DEP_1) | instskip(SKIP_1) | instid1(VALU_DEP_1)
	v_fma_f32 v7, -v7, v13, v14
	s_wait_alu 0xfffd
	v_div_fmas_f32 v7, v7, v12, v13
	s_delay_alu instid0(VALU_DEP_1) | instskip(NEXT) | instid1(VALU_DEP_1)
	v_div_fixup_f32 v6, v7, v0, v6
	v_fma_f32 v6, v6, v6, 1.0
	s_delay_alu instid0(VALU_DEP_1) | instskip(SKIP_2) | instid1(VALU_DEP_2)
	v_mul_f32_e32 v7, 0x4f800000, v6
	v_cmp_gt_f32_e32 vcc_lo, 0xf800000, v6
	s_wait_alu 0xfffd
	v_cndmask_b32_e32 v6, v6, v7, vcc_lo
	s_delay_alu instid0(VALU_DEP_1) | instskip(NEXT) | instid1(TRANS32_DEP_1)
	v_sqrt_f32_e32 v7, v6
	v_add_nc_u32_e32 v12, -1, v7
	v_add_nc_u32_e32 v13, 1, v7
	s_delay_alu instid0(VALU_DEP_2) | instskip(NEXT) | instid1(VALU_DEP_2)
	v_fma_f32 v14, -v12, v7, v6
	v_fma_f32 v15, -v13, v7, v6
	s_delay_alu instid0(VALU_DEP_2) | instskip(SKIP_1) | instid1(VALU_DEP_1)
	v_cmp_ge_f32_e64 s2, 0, v14
	s_wait_alu 0xf1ff
	v_cndmask_b32_e64 v7, v7, v12, s2
	s_delay_alu instid0(VALU_DEP_3) | instskip(SKIP_1) | instid1(VALU_DEP_1)
	v_cmp_lt_f32_e64 s2, 0, v15
	s_wait_alu 0xf1ff
	v_cndmask_b32_e64 v7, v7, v13, s2
	s_delay_alu instid0(VALU_DEP_1) | instskip(NEXT) | instid1(VALU_DEP_1)
	v_mul_f32_e32 v12, 0x37800000, v7
	v_cndmask_b32_e32 v7, v7, v12, vcc_lo
	v_cmp_class_f32_e64 vcc_lo, v6, 0x260
	s_wait_alu 0xfffd
	s_delay_alu instid0(VALU_DEP_2) | instskip(NEXT) | instid1(VALU_DEP_1)
	v_cndmask_b32_e32 v6, v7, v6, vcc_lo
	v_mul_f32_e32 v7, v0, v6
.LBB36_73:
	s_wait_alu 0xfffe
	s_or_b32 exec_lo, exec_lo, s5
	s_delay_alu instid0(VALU_DEP_1)
	v_cvt_f64_f32_e32 v[6:7], v7
	v_cmp_ne_u32_e32 vcc_lo, 1, v17
	v_cmp_eq_u32_e64 s2, 0, v16
	s_mov_b32 s5, -1
	s_cbranch_vccnz .LBB36_77
; %bb.74:
	v_cvt_f64_f32_e32 v[12:13], s29
	s_cmp_eq_u64 s[20:21], 8
	s_cselect_b32 vcc_lo, -1, 0
	s_wait_alu 0xfffe
	s_delay_alu instid0(VALU_DEP_1) | instskip(NEXT) | instid1(VALU_DEP_1)
	v_dual_cndmask_b32 v4, v13, v4 :: v_dual_cndmask_b32 v3, v12, v3
	v_cmp_ge_f64_e32 vcc_lo, v[3:4], v[6:7]
	s_and_b32 s6, s2, vcc_lo
	s_wait_alu 0xfffe
	s_and_saveexec_b32 s5, s6
	s_cbranch_execz .LBB36_76
; %bb.75:
	v_dual_mov_b32 v3, s3 :: v_dual_mov_b32 v4, s22
	global_store_b64 v[10:11], v[3:4], off
	s_wait_storecnt 0x0
	global_inv scope:SCOPE_DEV
.LBB36_76:
	s_wait_alu 0xfffe
	s_or_b32 exec_lo, exec_lo, s5
	s_mov_b32 s5, 0
.LBB36_77:
	s_wait_alu 0xfffe
	s_and_not1_b32 vcc_lo, exec_lo, s5
	s_wait_alu 0xfffe
	s_cbranch_vccnz .LBB36_88
; %bb.78:
	s_load_b64 s[0:1], s[0:1], 0x48
	v_add_nc_u32_e32 v0, s28, v5
	s_wait_kmcnt 0x0
	v_cmp_ge_f64_e32 vcc_lo, s[0:1], v[6:7]
	s_and_b32 s1, s2, vcc_lo
	s_wait_alu 0xfffe
	s_and_saveexec_b32 s0, s1
	s_cbranch_execz .LBB36_83
; %bb.79:
	s_mov_b32 s3, exec_lo
	s_brev_b32 s1, -2
.LBB36_80:                              ; =>This Inner Loop Header: Depth=1
	s_wait_alu 0xfffe
	s_ctz_i32_b32 s5, s3
	s_wait_alu 0xfffe
	v_readlane_b32 s6, v0, s5
	s_lshl_b32 s5, 1, s5
	s_wait_alu 0xfffe
	s_and_not1_b32 s3, s3, s5
	s_min_i32 s1, s1, s6
	s_wait_alu 0xfffe
	s_cmp_lg_u32 s3, 0
	s_cbranch_scc1 .LBB36_80
; %bb.81:
	v_mbcnt_lo_u32_b32 v3, exec_lo, 0
	s_mov_b32 s3, exec_lo
	s_delay_alu instid0(VALU_DEP_1)
	v_cmpx_eq_u32_e32 0, v3
	s_wait_alu 0xfffe
	s_xor_b32 s3, exec_lo, s3
	s_cbranch_execz .LBB36_83
; %bb.82:
	v_dual_mov_b32 v3, 0 :: v_dual_mov_b32 v4, s1
	global_atomic_min_i32 v3, v4, s[18:19] scope:SCOPE_DEV
.LBB36_83:
	s_wait_alu 0xfffe
	s_or_b32 exec_lo, exec_lo, s0
	v_cmp_eq_f32_e32 vcc_lo, 0, v8
	v_cmp_eq_f32_e64 s0, 0, v9
	s_and_b32 s0, vcc_lo, s0
	s_wait_alu 0xfffe
	s_and_b32 s0, s2, s0
	s_wait_alu 0xfffe
	s_and_b32 exec_lo, exec_lo, s0
	s_cbranch_execz .LBB36_88
; %bb.84:
	s_mov_b32 s1, exec_lo
	s_brev_b32 s0, -2
.LBB36_85:                              ; =>This Inner Loop Header: Depth=1
	s_wait_alu 0xfffe
	s_ctz_i32_b32 s2, s1
	s_wait_alu 0xfffe
	v_readlane_b32 s3, v0, s2
	s_lshl_b32 s2, 1, s2
	s_wait_alu 0xfffe
	s_and_not1_b32 s1, s1, s2
	s_min_i32 s0, s0, s3
	s_wait_alu 0xfffe
	s_cmp_lg_u32 s1, 0
	s_cbranch_scc1 .LBB36_85
; %bb.86:
	v_mbcnt_lo_u32_b32 v0, exec_lo, 0
	s_mov_b32 s1, exec_lo
	s_delay_alu instid0(VALU_DEP_1)
	v_cmpx_eq_u32_e32 0, v0
	s_wait_alu 0xfffe
	s_xor_b32 s1, exec_lo, s1
	s_cbranch_execz .LBB36_88
; %bb.87:
	v_dual_mov_b32 v0, 0 :: v_dual_mov_b32 v3, s0
	global_atomic_min_i32 v0, v3, s[16:17] scope:SCOPE_DEV
.LBB36_88:
	s_wait_alu 0xfffe
	s_or_b32 exec_lo, exec_lo, s4
	v_cmp_eq_u32_e32 vcc_lo, 0, v16
	s_wait_loadcnt 0x0
	s_wait_storecnt 0x0
	global_inv scope:SCOPE_DEV
	s_and_b32 exec_lo, exec_lo, vcc_lo
	s_cbranch_execz .LBB36_90
; %bb.89:
	v_add_co_u32 v0, vcc_lo, s12, v1
	s_wait_alu 0xfffd
	v_add_co_ci_u32_e64 v1, null, s13, v2, vcc_lo
	v_mov_b32_e32 v2, 1
	s_wait_loadcnt 0x0
	global_store_b32 v[0:1], v2, off scope:SCOPE_DEV
.LBB36_90:
	s_endpgm
	.section	.rodata,"a",@progbits
	.p2align	6, 0x0
	.amdhsa_kernel _ZN9rocsparseL12csrilu0_hashILj256ELj64ELj8E21rocsparse_complex_numIfEEEviPKiS4_PT2_S4_PiS4_S7_S7_d21rocsparse_index_base_imNS_24const_host_device_scalarIfEENS9_IdEENS9_IS5_EEb
		.amdhsa_group_segment_fixed_size 16384
		.amdhsa_private_segment_fixed_size 0
		.amdhsa_kernarg_size 124
		.amdhsa_user_sgpr_count 2
		.amdhsa_user_sgpr_dispatch_ptr 0
		.amdhsa_user_sgpr_queue_ptr 0
		.amdhsa_user_sgpr_kernarg_segment_ptr 1
		.amdhsa_user_sgpr_dispatch_id 0
		.amdhsa_user_sgpr_private_segment_size 0
		.amdhsa_wavefront_size32 1
		.amdhsa_uses_dynamic_stack 0
		.amdhsa_enable_private_segment 0
		.amdhsa_system_sgpr_workgroup_id_x 1
		.amdhsa_system_sgpr_workgroup_id_y 0
		.amdhsa_system_sgpr_workgroup_id_z 0
		.amdhsa_system_sgpr_workgroup_info 0
		.amdhsa_system_vgpr_workitem_id 0
		.amdhsa_next_free_vgpr 26
		.amdhsa_next_free_sgpr 42
		.amdhsa_reserve_vcc 1
		.amdhsa_float_round_mode_32 0
		.amdhsa_float_round_mode_16_64 0
		.amdhsa_float_denorm_mode_32 3
		.amdhsa_float_denorm_mode_16_64 3
		.amdhsa_fp16_overflow 0
		.amdhsa_workgroup_processor_mode 1
		.amdhsa_memory_ordered 1
		.amdhsa_forward_progress 1
		.amdhsa_inst_pref_size 32
		.amdhsa_round_robin_scheduling 0
		.amdhsa_exception_fp_ieee_invalid_op 0
		.amdhsa_exception_fp_denorm_src 0
		.amdhsa_exception_fp_ieee_div_zero 0
		.amdhsa_exception_fp_ieee_overflow 0
		.amdhsa_exception_fp_ieee_underflow 0
		.amdhsa_exception_fp_ieee_inexact 0
		.amdhsa_exception_int_div_zero 0
	.end_amdhsa_kernel
	.section	.text._ZN9rocsparseL12csrilu0_hashILj256ELj64ELj8E21rocsparse_complex_numIfEEEviPKiS4_PT2_S4_PiS4_S7_S7_d21rocsparse_index_base_imNS_24const_host_device_scalarIfEENS9_IdEENS9_IS5_EEb,"axG",@progbits,_ZN9rocsparseL12csrilu0_hashILj256ELj64ELj8E21rocsparse_complex_numIfEEEviPKiS4_PT2_S4_PiS4_S7_S7_d21rocsparse_index_base_imNS_24const_host_device_scalarIfEENS9_IdEENS9_IS5_EEb,comdat
.Lfunc_end36:
	.size	_ZN9rocsparseL12csrilu0_hashILj256ELj64ELj8E21rocsparse_complex_numIfEEEviPKiS4_PT2_S4_PiS4_S7_S7_d21rocsparse_index_base_imNS_24const_host_device_scalarIfEENS9_IdEENS9_IS5_EEb, .Lfunc_end36-_ZN9rocsparseL12csrilu0_hashILj256ELj64ELj8E21rocsparse_complex_numIfEEEviPKiS4_PT2_S4_PiS4_S7_S7_d21rocsparse_index_base_imNS_24const_host_device_scalarIfEENS9_IdEENS9_IS5_EEb
                                        ; -- End function
	.set _ZN9rocsparseL12csrilu0_hashILj256ELj64ELj8E21rocsparse_complex_numIfEEEviPKiS4_PT2_S4_PiS4_S7_S7_d21rocsparse_index_base_imNS_24const_host_device_scalarIfEENS9_IdEENS9_IS5_EEb.num_vgpr, 26
	.set _ZN9rocsparseL12csrilu0_hashILj256ELj64ELj8E21rocsparse_complex_numIfEEEviPKiS4_PT2_S4_PiS4_S7_S7_d21rocsparse_index_base_imNS_24const_host_device_scalarIfEENS9_IdEENS9_IS5_EEb.num_agpr, 0
	.set _ZN9rocsparseL12csrilu0_hashILj256ELj64ELj8E21rocsparse_complex_numIfEEEviPKiS4_PT2_S4_PiS4_S7_S7_d21rocsparse_index_base_imNS_24const_host_device_scalarIfEENS9_IdEENS9_IS5_EEb.numbered_sgpr, 42
	.set _ZN9rocsparseL12csrilu0_hashILj256ELj64ELj8E21rocsparse_complex_numIfEEEviPKiS4_PT2_S4_PiS4_S7_S7_d21rocsparse_index_base_imNS_24const_host_device_scalarIfEENS9_IdEENS9_IS5_EEb.num_named_barrier, 0
	.set _ZN9rocsparseL12csrilu0_hashILj256ELj64ELj8E21rocsparse_complex_numIfEEEviPKiS4_PT2_S4_PiS4_S7_S7_d21rocsparse_index_base_imNS_24const_host_device_scalarIfEENS9_IdEENS9_IS5_EEb.private_seg_size, 0
	.set _ZN9rocsparseL12csrilu0_hashILj256ELj64ELj8E21rocsparse_complex_numIfEEEviPKiS4_PT2_S4_PiS4_S7_S7_d21rocsparse_index_base_imNS_24const_host_device_scalarIfEENS9_IdEENS9_IS5_EEb.uses_vcc, 1
	.set _ZN9rocsparseL12csrilu0_hashILj256ELj64ELj8E21rocsparse_complex_numIfEEEviPKiS4_PT2_S4_PiS4_S7_S7_d21rocsparse_index_base_imNS_24const_host_device_scalarIfEENS9_IdEENS9_IS5_EEb.uses_flat_scratch, 0
	.set _ZN9rocsparseL12csrilu0_hashILj256ELj64ELj8E21rocsparse_complex_numIfEEEviPKiS4_PT2_S4_PiS4_S7_S7_d21rocsparse_index_base_imNS_24const_host_device_scalarIfEENS9_IdEENS9_IS5_EEb.has_dyn_sized_stack, 0
	.set _ZN9rocsparseL12csrilu0_hashILj256ELj64ELj8E21rocsparse_complex_numIfEEEviPKiS4_PT2_S4_PiS4_S7_S7_d21rocsparse_index_base_imNS_24const_host_device_scalarIfEENS9_IdEENS9_IS5_EEb.has_recursion, 0
	.set _ZN9rocsparseL12csrilu0_hashILj256ELj64ELj8E21rocsparse_complex_numIfEEEviPKiS4_PT2_S4_PiS4_S7_S7_d21rocsparse_index_base_imNS_24const_host_device_scalarIfEENS9_IdEENS9_IS5_EEb.has_indirect_call, 0
	.section	.AMDGPU.csdata,"",@progbits
; Kernel info:
; codeLenInByte = 3972
; TotalNumSgprs: 44
; NumVgprs: 26
; ScratchSize: 0
; MemoryBound: 0
; FloatMode: 240
; IeeeMode: 1
; LDSByteSize: 16384 bytes/workgroup (compile time only)
; SGPRBlocks: 0
; VGPRBlocks: 3
; NumSGPRsForWavesPerEU: 44
; NumVGPRsForWavesPerEU: 26
; Occupancy: 16
; WaveLimiterHint : 1
; COMPUTE_PGM_RSRC2:SCRATCH_EN: 0
; COMPUTE_PGM_RSRC2:USER_SGPR: 2
; COMPUTE_PGM_RSRC2:TRAP_HANDLER: 0
; COMPUTE_PGM_RSRC2:TGID_X_EN: 1
; COMPUTE_PGM_RSRC2:TGID_Y_EN: 0
; COMPUTE_PGM_RSRC2:TGID_Z_EN: 0
; COMPUTE_PGM_RSRC2:TIDIG_COMP_CNT: 0
	.section	.text._ZN9rocsparseL12csrilu0_hashILj256ELj64ELj16E21rocsparse_complex_numIfEEEviPKiS4_PT2_S4_PiS4_S7_S7_d21rocsparse_index_base_imNS_24const_host_device_scalarIfEENS9_IdEENS9_IS5_EEb,"axG",@progbits,_ZN9rocsparseL12csrilu0_hashILj256ELj64ELj16E21rocsparse_complex_numIfEEEviPKiS4_PT2_S4_PiS4_S7_S7_d21rocsparse_index_base_imNS_24const_host_device_scalarIfEENS9_IdEENS9_IS5_EEb,comdat
	.globl	_ZN9rocsparseL12csrilu0_hashILj256ELj64ELj16E21rocsparse_complex_numIfEEEviPKiS4_PT2_S4_PiS4_S7_S7_d21rocsparse_index_base_imNS_24const_host_device_scalarIfEENS9_IdEENS9_IS5_EEb ; -- Begin function _ZN9rocsparseL12csrilu0_hashILj256ELj64ELj16E21rocsparse_complex_numIfEEEviPKiS4_PT2_S4_PiS4_S7_S7_d21rocsparse_index_base_imNS_24const_host_device_scalarIfEENS9_IdEENS9_IS5_EEb
	.p2align	8
	.type	_ZN9rocsparseL12csrilu0_hashILj256ELj64ELj16E21rocsparse_complex_numIfEEEviPKiS4_PT2_S4_PiS4_S7_S7_d21rocsparse_index_base_imNS_24const_host_device_scalarIfEENS9_IdEENS9_IS5_EEb,@function
_ZN9rocsparseL12csrilu0_hashILj256ELj64ELj16E21rocsparse_complex_numIfEEEviPKiS4_PT2_S4_PiS4_S7_S7_d21rocsparse_index_base_imNS_24const_host_device_scalarIfEENS9_IdEENS9_IS5_EEb: ; @_ZN9rocsparseL12csrilu0_hashILj256ELj64ELj16E21rocsparse_complex_numIfEEEviPKiS4_PT2_S4_PiS4_S7_S7_d21rocsparse_index_base_imNS_24const_host_device_scalarIfEENS9_IdEENS9_IS5_EEb
; %bb.0:
	s_clause 0x2
	s_load_b32 s2, s[0:1], 0x78
	s_load_b64 s[28:29], s[0:1], 0x50
	s_load_b256 s[20:27], s[0:1], 0x58
	s_wait_kmcnt 0x0
	s_bitcmp1_b32 s2, 0
	s_cselect_b32 s4, -1, 0
	s_cmp_eq_u32 s29, 0
	s_cselect_b32 s2, -1, 0
	s_cmp_lg_u32 s29, 0
	s_cselect_b32 s5, -1, 0
	s_or_b32 s7, s2, s4
	s_delay_alu instid0(SALU_CYCLE_1)
	s_xor_b32 s6, s7, -1
	s_and_b32 s2, s2, exec_lo
	s_cselect_b32 s3, 0, s25
	s_cselect_b32 s2, 0, s24
	;; [unrolled: 1-line block ×3, first 2 shown]
	s_and_b32 vcc_lo, exec_lo, s7
	s_cbranch_vccnz .LBB37_2
; %bb.1:
	s_load_b32 s29, s[22:23], 0x0
	s_mov_b64 s[2:3], s[24:25]
.LBB37_2:
	s_delay_alu instid0(SALU_CYCLE_1)
	v_dual_mov_b32 v4, s3 :: v_dual_mov_b32 v3, s2
	s_and_not1_b32 vcc_lo, exec_lo, s6
	s_cbranch_vccnz .LBB37_4
; %bb.3:
	v_dual_mov_b32 v1, s24 :: v_dual_mov_b32 v2, s25
	flat_load_b64 v[3:4], v[1:2]
.LBB37_4:
	v_cndmask_b32_e64 v17, 0, 1, s5
	s_mov_b32 s3, 0
	s_and_not1_b32 vcc_lo, exec_lo, s5
	s_mov_b32 s22, 0
	s_cbranch_vccnz .LBB37_10
; %bb.5:
	s_xor_b32 s2, s4, -1
	s_mov_b32 s3, s26
	s_wait_alu 0xfffe
	v_cndmask_b32_e64 v1, 0, 1, s2
	s_and_not1_b32 vcc_lo, exec_lo, s2
	s_cbranch_vccnz .LBB37_7
; %bb.6:
	s_load_b32 s3, s[26:27], 0x0
.LBB37_7:
	s_delay_alu instid0(VALU_DEP_1)
	v_cmp_ne_u32_e32 vcc_lo, 1, v1
	s_cbranch_vccnz .LBB37_9
; %bb.8:
	s_load_b32 s27, s[26:27], 0x4
.LBB37_9:
	s_wait_kmcnt 0x0
	s_mov_b32 s22, s27
.LBB37_10:
	v_lshrrev_b32_e32 v1, 6, v0
	v_and_b32_e32 v16, 63, v0
	s_mov_b32 s2, 0
	s_delay_alu instid0(VALU_DEP_2) | instskip(NEXT) | instid1(VALU_DEP_2)
	v_lshlrev_b32_e32 v5, 12, v1
	v_lshlrev_b32_e32 v6, 2, v16
	v_or_b32_e32 v2, 0xffffffc0, v16
	s_delay_alu instid0(VALU_DEP_2)
	v_or3_b32 v5, v5, v6, 0x4000
	v_mov_b32_e32 v6, -1
.LBB37_11:                              ; =>This Inner Loop Header: Depth=1
	s_delay_alu instid0(VALU_DEP_3)
	v_add_nc_u32_e32 v2, 64, v2
	ds_store_b32 v5, v6
	v_add_nc_u32_e32 v5, 0x100, v5
	v_cmp_lt_u32_e32 vcc_lo, 0x3bf, v2
	s_wait_alu 0xfffe
	s_or_b32 s2, vcc_lo, s2
	s_wait_alu 0xfffe
	s_and_not1_b32 exec_lo, exec_lo, s2
	s_cbranch_execnz .LBB37_11
; %bb.12:
	s_or_b32 exec_lo, exec_lo, s2
	s_load_b32 s2, s[0:1], 0x0
	s_lshl_b32 s4, ttmp9, 2
	s_wait_loadcnt_dscnt 0x0
	global_inv scope:SCOPE_SE
	s_wait_alu 0xfffe
	v_and_or_b32 v1, 0x3fffffc, s4, v1
	s_wait_kmcnt 0x0
	s_delay_alu instid0(VALU_DEP_1)
	v_cmp_gt_i32_e32 vcc_lo, s2, v1
	s_and_saveexec_b32 s2, vcc_lo
	s_cbranch_execz .LBB37_90
; %bb.13:
	s_load_b512 s[4:19], s[0:1], 0x8
	v_lshlrev_b32_e32 v1, 2, v1
	v_lshlrev_b32_e32 v0, 6, v0
	s_mov_b32 s2, exec_lo
	s_delay_alu instid0(VALU_DEP_1) | instskip(NEXT) | instid1(VALU_DEP_1)
	v_and_b32_e32 v0, 0x3000, v0
	v_or_b32_e32 v18, 0x4000, v0
	s_wait_kmcnt 0x0
	global_load_b32 v5, v1, s[14:15]
	s_wait_loadcnt 0x0
	v_ashrrev_i32_e32 v6, 31, v5
	s_delay_alu instid0(VALU_DEP_1) | instskip(NEXT) | instid1(VALU_DEP_1)
	v_lshlrev_b64_e32 v[1:2], 2, v[5:6]
	v_add_co_u32 v6, vcc_lo, s4, v1
	s_delay_alu instid0(VALU_DEP_1)
	v_add_co_ci_u32_e64 v7, null, s5, v2, vcc_lo
	v_add_co_u32 v9, vcc_lo, s10, v1
	s_wait_alu 0xfffd
	v_add_co_ci_u32_e64 v10, null, s11, v2, vcc_lo
	global_load_b64 v[7:8], v[6:7], off
	global_load_b32 v6, v[9:10], off
	s_wait_loadcnt 0x1
	v_subrev_nc_u32_e32 v7, s28, v7
	v_subrev_nc_u32_e32 v10, s28, v8
	s_delay_alu instid0(VALU_DEP_2) | instskip(NEXT) | instid1(VALU_DEP_1)
	v_add_nc_u32_e32 v8, v7, v16
	v_cmpx_lt_i32_e64 v8, v10
	s_cbranch_execz .LBB37_36
; %bb.14:
	v_mov_b32_e32 v11, -1
	s_mov_b32 s14, 0
	s_branch .LBB37_16
.LBB37_15:                              ;   in Loop: Header=BB37_16 Depth=1
	s_or_b32 exec_lo, exec_lo, s15
	v_add_nc_u32_e32 v8, 64, v8
	s_delay_alu instid0(VALU_DEP_1) | instskip(SKIP_1) | instid1(SALU_CYCLE_1)
	v_cmp_ge_i32_e32 vcc_lo, v8, v10
	s_or_b32 s14, vcc_lo, s14
	s_and_not1_b32 exec_lo, exec_lo, s14
	s_cbranch_execz .LBB37_36
.LBB37_16:                              ; =>This Loop Header: Depth=1
                                        ;     Child Loop BB37_25 Depth 2
	v_ashrrev_i32_e32 v9, 31, v8
	s_mov_b32 s15, 0
                                        ; implicit-def: $sgpr23
                                        ; implicit-def: $sgpr24
                                        ; implicit-def: $sgpr25
	s_delay_alu instid0(VALU_DEP_1) | instskip(NEXT) | instid1(VALU_DEP_1)
	v_lshlrev_b64_e32 v[12:13], 2, v[8:9]
	v_add_co_u32 v12, vcc_lo, s6, v12
	s_wait_alu 0xfffd
	s_delay_alu instid0(VALU_DEP_2)
	v_add_co_ci_u32_e64 v13, null, s7, v13, vcc_lo
	global_load_b32 v9, v[12:13], off
	v_mov_b32_e32 v12, 0x400
	s_wait_loadcnt 0x0
	v_mul_lo_u32 v14, 0x67, v9
	s_branch .LBB37_25
.LBB37_17:                              ;   in Loop: Header=BB37_25 Depth=2
	s_or_b32 exec_lo, exec_lo, s38
	s_delay_alu instid0(SALU_CYCLE_1)
	s_or_not1_b32 s36, s36, exec_lo
	s_or_not1_b32 s37, s37, exec_lo
.LBB37_18:                              ;   in Loop: Header=BB37_25 Depth=2
	s_or_b32 exec_lo, exec_lo, s35
	s_delay_alu instid0(SALU_CYCLE_1)
	s_and_b32 s36, s36, exec_lo
	s_or_not1_b32 s35, s37, exec_lo
.LBB37_19:                              ;   in Loop: Header=BB37_25 Depth=2
	s_or_b32 exec_lo, exec_lo, s34
	s_delay_alu instid0(SALU_CYCLE_1)
	s_or_not1_b32 s34, s36, exec_lo
	s_or_not1_b32 s35, s35, exec_lo
.LBB37_20:                              ;   in Loop: Header=BB37_25 Depth=2
	s_or_b32 exec_lo, exec_lo, s33
	s_delay_alu instid0(SALU_CYCLE_1)
	s_and_b32 s34, s34, exec_lo
	s_or_not1_b32 s33, s35, exec_lo
.LBB37_21:                              ;   in Loop: Header=BB37_25 Depth=2
	s_or_b32 exec_lo, exec_lo, s31
	s_delay_alu instid0(SALU_CYCLE_1)
	s_or_not1_b32 s31, s34, exec_lo
	s_or_not1_b32 s33, s33, exec_lo
.LBB37_22:                              ;   in Loop: Header=BB37_25 Depth=2
	s_or_b32 exec_lo, exec_lo, s30
	s_delay_alu instid0(SALU_CYCLE_1)
	s_and_b32 s31, s31, exec_lo
	s_or_not1_b32 s30, s33, exec_lo
.LBB37_23:                              ;   in Loop: Header=BB37_25 Depth=2
	s_or_b32 exec_lo, exec_lo, s27
	s_wait_alu 0xfffe
	s_and_not1_b32 s25, s25, exec_lo
	s_and_b32 s27, s31, exec_lo
	s_and_not1_b32 s24, s24, exec_lo
	s_and_b32 s30, s30, exec_lo
	s_wait_alu 0xfffe
	s_or_b32 s25, s25, s27
	s_or_b32 s24, s24, s30
.LBB37_24:                              ;   in Loop: Header=BB37_25 Depth=2
	s_or_b32 exec_lo, exec_lo, s26
	s_wait_alu 0xfffe
	s_and_b32 s26, exec_lo, s24
	s_delay_alu instid0(SALU_CYCLE_1) | instskip(SKIP_2) | instid1(SALU_CYCLE_1)
	s_or_b32 s15, s26, s15
	s_and_not1_b32 s23, s23, exec_lo
	s_and_b32 s26, s25, exec_lo
	s_or_b32 s23, s23, s26
	s_and_not1_b32 exec_lo, exec_lo, s15
	s_cbranch_execz .LBB37_34
.LBB37_25:                              ;   Parent Loop BB37_16 Depth=1
                                        ; =>  This Inner Loop Header: Depth=2
	s_delay_alu instid0(VALU_DEP_1) | instskip(SKIP_3) | instid1(VALU_DEP_1)
	v_and_b32_e32 v13, 0x3ff, v14
	s_or_b32 s25, s25, exec_lo
	s_or_b32 s24, s24, exec_lo
	s_mov_b32 s26, exec_lo
	v_lshl_add_u32 v15, v13, 2, v18
	ds_load_b32 v19, v15
	s_wait_dscnt 0x0
	v_cmpx_ne_u32_e64 v19, v9
	s_cbranch_execz .LBB37_24
; %bb.26:                               ;   in Loop: Header=BB37_25 Depth=2
	ds_cmpstore_rtn_b32 v15, v15, v9, v11
	s_mov_b32 s30, -1
	s_mov_b32 s31, 0
	s_mov_b32 s27, exec_lo
	s_wait_dscnt 0x0
	v_cmpx_ne_u32_e32 -1, v15
	s_cbranch_execz .LBB37_23
; %bb.27:                               ;   in Loop: Header=BB37_25 Depth=2
	v_add_nc_u32_e32 v13, 1, v14
	s_mov_b32 s33, -1
	s_mov_b32 s31, -1
	s_mov_b32 s30, exec_lo
	s_delay_alu instid0(VALU_DEP_1) | instskip(NEXT) | instid1(VALU_DEP_1)
	v_and_b32_e32 v13, 0x3ff, v13
	v_lshl_add_u32 v15, v13, 2, v18
	ds_load_b32 v19, v15
	s_wait_dscnt 0x0
	v_cmpx_ne_u32_e64 v19, v9
	s_cbranch_execz .LBB37_22
; %bb.28:                               ;   in Loop: Header=BB37_25 Depth=2
	ds_cmpstore_rtn_b32 v15, v15, v9, v11
	s_mov_b32 s34, 0
	s_mov_b32 s31, exec_lo
	s_wait_dscnt 0x0
	v_cmpx_ne_u32_e32 -1, v15
	s_cbranch_execz .LBB37_21
; %bb.29:                               ;   in Loop: Header=BB37_25 Depth=2
	v_add_nc_u32_e32 v13, 2, v14
	s_mov_b32 s35, -1
	s_mov_b32 s34, -1
	s_mov_b32 s33, exec_lo
	s_delay_alu instid0(VALU_DEP_1) | instskip(NEXT) | instid1(VALU_DEP_1)
	v_and_b32_e32 v13, 0x3ff, v13
	v_lshl_add_u32 v15, v13, 2, v18
	ds_load_b32 v19, v15
	s_wait_dscnt 0x0
	v_cmpx_ne_u32_e64 v19, v9
	s_cbranch_execz .LBB37_20
; %bb.30:                               ;   in Loop: Header=BB37_25 Depth=2
	ds_cmpstore_rtn_b32 v15, v15, v9, v11
	s_mov_b32 s36, 0
	s_mov_b32 s34, exec_lo
	s_wait_dscnt 0x0
	v_cmpx_ne_u32_e32 -1, v15
	s_cbranch_execz .LBB37_19
; %bb.31:                               ;   in Loop: Header=BB37_25 Depth=2
	v_add_nc_u32_e32 v13, 3, v14
	s_mov_b32 s37, -1
	s_mov_b32 s36, -1
	s_delay_alu instid0(VALU_DEP_1) | instskip(NEXT) | instid1(VALU_DEP_1)
	v_and_b32_e32 v13, 0x3ff, v13
	v_lshl_add_u32 v15, v13, 2, v18
	ds_load_b32 v14, v15
	s_wait_dscnt 0x0
	v_cmp_ne_u32_e32 vcc_lo, v14, v9
                                        ; implicit-def: $vgpr14
	s_and_saveexec_b32 s35, vcc_lo
	s_cbranch_execz .LBB37_18
; %bb.32:                               ;   in Loop: Header=BB37_25 Depth=2
	ds_cmpstore_rtn_b32 v14, v15, v9, v11
	s_mov_b32 s36, 0
	s_wait_dscnt 0x0
	v_cmp_ne_u32_e32 vcc_lo, -1, v14
                                        ; implicit-def: $vgpr14
	s_and_saveexec_b32 s38, vcc_lo
	s_cbranch_execz .LBB37_17
; %bb.33:                               ;   in Loop: Header=BB37_25 Depth=2
	v_add_nc_u32_e32 v12, -4, v12
	v_add_nc_u32_e32 v14, 1, v13
	s_mov_b32 s36, exec_lo
	s_delay_alu instid0(VALU_DEP_2)
	v_cmp_eq_u32_e32 vcc_lo, 0, v12
	s_or_not1_b32 s37, vcc_lo, exec_lo
	s_branch .LBB37_17
.LBB37_34:                              ;   in Loop: Header=BB37_16 Depth=1
	s_or_b32 exec_lo, exec_lo, s15
	s_xor_b32 s15, s23, -1
	s_delay_alu instid0(SALU_CYCLE_1) | instskip(NEXT) | instid1(SALU_CYCLE_1)
	s_and_saveexec_b32 s23, s15
	s_xor_b32 s15, exec_lo, s23
	s_cbranch_execz .LBB37_15
; %bb.35:                               ;   in Loop: Header=BB37_16 Depth=1
	v_lshl_add_u32 v9, v13, 2, v0
	ds_store_b32 v9, v8
	s_branch .LBB37_15
.LBB37_36:
	s_wait_alu 0xfffe
	s_or_b32 exec_lo, exec_lo, s2
	s_delay_alu instid0(SALU_CYCLE_1)
	s_mov_b32 s14, exec_lo
	s_wait_loadcnt_dscnt 0x0
	global_inv scope:SCOPE_SE
	v_cmpx_lt_i32_e64 v7, v6
	s_cbranch_execz .LBB37_66
; %bb.37:
	v_add_nc_u32_e32 v19, 1, v16
	s_mov_b32 s15, 0
	s_branch .LBB37_40
.LBB37_38:                              ;   in Loop: Header=BB37_40 Depth=1
	s_or_b32 exec_lo, exec_lo, s23
	v_add_nc_u32_e32 v7, 1, v7
	s_delay_alu instid0(VALU_DEP_1)
	v_cmp_ge_i32_e32 vcc_lo, v7, v6
	s_or_not1_b32 s23, vcc_lo, exec_lo
.LBB37_39:                              ;   in Loop: Header=BB37_40 Depth=1
	s_wait_alu 0xfffe
	s_or_b32 exec_lo, exec_lo, s2
	s_delay_alu instid0(SALU_CYCLE_1) | instskip(SKIP_2) | instid1(SALU_CYCLE_1)
	s_and_b32 s2, exec_lo, s23
	s_wait_alu 0xfffe
	s_or_b32 s15, s2, s15
	s_and_not1_b32 exec_lo, exec_lo, s15
	s_cbranch_execz .LBB37_66
.LBB37_40:                              ; =>This Loop Header: Depth=1
                                        ;     Child Loop BB37_41 Depth 2
                                        ;     Child Loop BB37_46 Depth 2
                                        ;       Child Loop BB37_55 Depth 3
	v_ashrrev_i32_e32 v8, 31, v7
	s_mov_b32 s2, 0
	s_delay_alu instid0(VALU_DEP_1) | instskip(SKIP_1) | instid1(VALU_DEP_2)
	v_lshlrev_b64_e32 v[9:10], 2, v[7:8]
	v_lshlrev_b64_e32 v[12:13], 3, v[7:8]
	v_add_co_u32 v9, vcc_lo, s6, v9
	s_wait_alu 0xfffd
	s_delay_alu instid0(VALU_DEP_3) | instskip(NEXT) | instid1(VALU_DEP_3)
	v_add_co_ci_u32_e64 v10, null, s7, v10, vcc_lo
	v_add_co_u32 v12, vcc_lo, s8, v12
	s_wait_alu 0xfffd
	v_add_co_ci_u32_e64 v13, null, s9, v13, vcc_lo
	global_load_b32 v9, v[9:10], off
	s_wait_loadcnt 0x0
	v_subrev_nc_u32_e32 v9, s28, v9
	s_delay_alu instid0(VALU_DEP_1) | instskip(NEXT) | instid1(VALU_DEP_1)
	v_ashrrev_i32_e32 v10, 31, v9
	v_lshlrev_b64_e32 v[10:11], 2, v[9:10]
	s_delay_alu instid0(VALU_DEP_1) | instskip(SKIP_1) | instid1(VALU_DEP_2)
	v_add_co_u32 v14, vcc_lo, s4, v10
	s_wait_alu 0xfffd
	v_add_co_ci_u32_e64 v15, null, s5, v11, vcc_lo
	v_add_co_u32 v20, vcc_lo, s10, v10
	s_wait_alu 0xfffd
	v_add_co_ci_u32_e64 v21, null, s11, v11, vcc_lo
	global_load_b64 v[8:9], v[12:13], off
	global_load_b32 v14, v[14:15], off offset:4
	global_load_b32 v15, v[20:21], off
	v_add_co_u32 v10, vcc_lo, s12, v10
	s_wait_alu 0xfffd
	v_add_co_ci_u32_e64 v11, null, s13, v11, vcc_lo
.LBB37_41:                              ;   Parent Loop BB37_40 Depth=1
                                        ; =>  This Inner Loop Header: Depth=2
	global_load_b32 v20, v[10:11], off scope:SCOPE_DEV
	s_wait_loadcnt 0x0
	v_cmp_ne_u32_e32 vcc_lo, 0, v20
	s_wait_alu 0xfffe
	s_or_b32 s2, vcc_lo, s2
	s_wait_alu 0xfffe
	s_and_not1_b32 exec_lo, exec_lo, s2
	s_cbranch_execnz .LBB37_41
; %bb.42:                               ;   in Loop: Header=BB37_40 Depth=1
	s_or_b32 exec_lo, exec_lo, s2
	v_subrev_nc_u32_e32 v20, s28, v14
	v_cmp_eq_u32_e32 vcc_lo, -1, v15
	global_inv scope:SCOPE_DEV
	s_mov_b32 s23, -1
	v_add_nc_u32_e32 v10, -1, v20
	s_wait_alu 0xfffd
	s_delay_alu instid0(VALU_DEP_1) | instskip(NEXT) | instid1(VALU_DEP_1)
	v_cndmask_b32_e32 v10, v15, v10, vcc_lo
	v_ashrrev_i32_e32 v11, 31, v10
	s_delay_alu instid0(VALU_DEP_1) | instskip(NEXT) | instid1(VALU_DEP_1)
	v_lshlrev_b64_e32 v[14:15], 3, v[10:11]
	v_add_co_u32 v14, vcc_lo, s8, v14
	s_wait_alu 0xfffd
	s_delay_alu instid0(VALU_DEP_2)
	v_add_co_ci_u32_e64 v15, null, s9, v15, vcc_lo
	global_load_b64 v[14:15], v[14:15], off
	s_wait_loadcnt 0x0
	v_cmp_neq_f32_e32 vcc_lo, 0, v14
	v_cmp_neq_f32_e64 s2, 0, v15
	s_or_b32 s24, vcc_lo, s2
	s_wait_alu 0xfffe
	s_and_saveexec_b32 s2, s24
	s_cbranch_execz .LBB37_39
; %bb.43:                               ;   in Loop: Header=BB37_40 Depth=1
	v_mul_f32_e32 v11, v15, v15
	s_mov_b32 s23, exec_lo
	s_delay_alu instid0(VALU_DEP_1) | instskip(NEXT) | instid1(VALU_DEP_1)
	v_fmac_f32_e32 v11, v14, v14
	v_div_scale_f32 v21, null, v11, v11, 1.0
	v_div_scale_f32 v24, vcc_lo, 1.0, v11, 1.0
	s_delay_alu instid0(VALU_DEP_2) | instskip(NEXT) | instid1(TRANS32_DEP_1)
	v_rcp_f32_e32 v22, v21
	v_fma_f32 v23, -v21, v22, 1.0
	s_delay_alu instid0(VALU_DEP_1) | instskip(NEXT) | instid1(VALU_DEP_1)
	v_fmac_f32_e32 v22, v23, v22
	v_mul_f32_e32 v23, v24, v22
	s_delay_alu instid0(VALU_DEP_1) | instskip(NEXT) | instid1(VALU_DEP_1)
	v_fma_f32 v25, -v21, v23, v24
	v_fmac_f32_e32 v23, v25, v22
	s_delay_alu instid0(VALU_DEP_1) | instskip(SKIP_3) | instid1(VALU_DEP_3)
	v_fma_f32 v21, -v21, v23, v24
	v_mul_f32_e32 v24, v9, v15
	v_mul_f32_e64 v15, v15, -v8
	s_wait_alu 0xfffd
	v_div_fmas_f32 v21, v21, v22, v23
	s_delay_alu instid0(VALU_DEP_3) | instskip(NEXT) | instid1(VALU_DEP_3)
	v_fmac_f32_e32 v24, v8, v14
	v_fmac_f32_e32 v15, v9, v14
	v_add_nc_u32_e32 v8, v19, v10
	s_delay_alu instid0(VALU_DEP_4) | instskip(NEXT) | instid1(VALU_DEP_1)
	v_div_fixup_f32 v11, v21, v11, 1.0
	v_mul_f32_e32 v10, v24, v11
	s_delay_alu instid0(VALU_DEP_4)
	v_mul_f32_e32 v11, v15, v11
	global_store_b64 v[12:13], v[10:11], off
	v_cmpx_lt_i32_e64 v8, v20
	s_cbranch_execz .LBB37_38
; %bb.44:                               ;   in Loop: Header=BB37_40 Depth=1
	s_mov_b32 s24, 0
	s_branch .LBB37_46
.LBB37_45:                              ;   in Loop: Header=BB37_46 Depth=2
	s_wait_alu 0xfffe
	s_or_b32 exec_lo, exec_lo, s25
	v_add_nc_u32_e32 v8, 64, v8
	s_delay_alu instid0(VALU_DEP_1)
	v_cmp_ge_i32_e32 vcc_lo, v8, v20
	s_or_b32 s24, vcc_lo, s24
	s_wait_alu 0xfffe
	s_and_not1_b32 exec_lo, exec_lo, s24
	s_cbranch_execz .LBB37_38
.LBB37_46:                              ;   Parent Loop BB37_40 Depth=1
                                        ; =>  This Loop Header: Depth=2
                                        ;       Child Loop BB37_55 Depth 3
	v_ashrrev_i32_e32 v9, 31, v8
	s_mov_b32 s25, 0
                                        ; implicit-def: $sgpr26
                                        ; implicit-def: $sgpr27
                                        ; implicit-def: $sgpr30
	s_delay_alu instid0(VALU_DEP_1) | instskip(NEXT) | instid1(VALU_DEP_1)
	v_lshlrev_b64_e32 v[12:13], 2, v[8:9]
	v_add_co_u32 v12, vcc_lo, s6, v12
	s_wait_alu 0xfffd
	s_delay_alu instid0(VALU_DEP_2)
	v_add_co_ci_u32_e64 v13, null, s7, v13, vcc_lo
	global_load_b32 v12, v[12:13], off
	v_mov_b32_e32 v13, 0x400
	s_wait_loadcnt 0x0
	v_mul_lo_u32 v15, 0x67, v12
	s_branch .LBB37_55
.LBB37_47:                              ;   in Loop: Header=BB37_55 Depth=3
	s_or_b32 exec_lo, exec_lo, s41
	s_delay_alu instid0(SALU_CYCLE_1)
	s_or_not1_b32 s39, s39, exec_lo
	s_or_not1_b32 s40, s40, exec_lo
.LBB37_48:                              ;   in Loop: Header=BB37_55 Depth=3
	s_or_b32 exec_lo, exec_lo, s38
	s_delay_alu instid0(SALU_CYCLE_1)
	s_and_b32 s39, s39, exec_lo
	s_or_not1_b32 s38, s40, exec_lo
.LBB37_49:                              ;   in Loop: Header=BB37_55 Depth=3
	s_or_b32 exec_lo, exec_lo, s37
	s_delay_alu instid0(SALU_CYCLE_1)
	s_or_not1_b32 s37, s39, exec_lo
	s_or_not1_b32 s38, s38, exec_lo
.LBB37_50:                              ;   in Loop: Header=BB37_55 Depth=3
	s_or_b32 exec_lo, exec_lo, s36
	s_delay_alu instid0(SALU_CYCLE_1)
	s_and_b32 s37, s37, exec_lo
	s_or_not1_b32 s36, s38, exec_lo
.LBB37_51:                              ;   in Loop: Header=BB37_55 Depth=3
	s_or_b32 exec_lo, exec_lo, s35
	s_delay_alu instid0(SALU_CYCLE_1)
	s_or_not1_b32 s35, s37, exec_lo
	s_or_not1_b32 s36, s36, exec_lo
.LBB37_52:                              ;   in Loop: Header=BB37_55 Depth=3
	s_or_b32 exec_lo, exec_lo, s34
	s_delay_alu instid0(SALU_CYCLE_1)
	s_and_b32 s35, s35, exec_lo
	s_or_not1_b32 s34, s36, exec_lo
.LBB37_53:                              ;   in Loop: Header=BB37_55 Depth=3
	s_or_b32 exec_lo, exec_lo, s33
	s_delay_alu instid0(SALU_CYCLE_1)
	s_and_not1_b32 s30, s30, exec_lo
	s_and_b32 s33, s35, exec_lo
	s_and_not1_b32 s27, s27, exec_lo
	s_and_b32 s34, s34, exec_lo
	s_or_b32 s30, s30, s33
	s_or_b32 s27, s27, s34
.LBB37_54:                              ;   in Loop: Header=BB37_55 Depth=3
	s_or_b32 exec_lo, exec_lo, s31
	s_delay_alu instid0(SALU_CYCLE_1) | instskip(SKIP_4) | instid1(SALU_CYCLE_1)
	s_and_b32 s31, exec_lo, s27
	s_wait_alu 0xfffe
	s_or_b32 s25, s31, s25
	s_and_not1_b32 s26, s26, exec_lo
	s_and_b32 s31, s30, exec_lo
	s_or_b32 s26, s26, s31
	s_wait_alu 0xfffe
	s_and_not1_b32 exec_lo, exec_lo, s25
	s_cbranch_execz .LBB37_64
.LBB37_55:                              ;   Parent Loop BB37_40 Depth=1
                                        ;     Parent Loop BB37_46 Depth=2
                                        ; =>    This Inner Loop Header: Depth=3
	s_delay_alu instid0(VALU_DEP_1) | instskip(SKIP_3) | instid1(VALU_DEP_1)
	v_and_b32_e32 v14, 0x3ff, v15
	s_or_b32 s30, s30, exec_lo
	s_or_b32 s27, s27, exec_lo
	s_mov_b32 s31, exec_lo
	v_lshl_add_u32 v21, v14, 2, v18
	ds_load_b32 v21, v21
	s_wait_dscnt 0x0
	v_cmpx_ne_u32_e32 -1, v21
	s_cbranch_execz .LBB37_54
; %bb.56:                               ;   in Loop: Header=BB37_55 Depth=3
	s_mov_b32 s34, -1
	s_mov_b32 s35, 0
	s_mov_b32 s33, exec_lo
	v_cmpx_ne_u32_e64 v21, v12
	s_cbranch_execz .LBB37_53
; %bb.57:                               ;   in Loop: Header=BB37_55 Depth=3
	v_add_nc_u32_e32 v14, 1, v15
	s_mov_b32 s36, -1
	s_mov_b32 s35, -1
	s_mov_b32 s34, exec_lo
	s_delay_alu instid0(VALU_DEP_1) | instskip(NEXT) | instid1(VALU_DEP_1)
	v_and_b32_e32 v14, 0x3ff, v14
	v_lshl_add_u32 v21, v14, 2, v18
	ds_load_b32 v21, v21
	s_wait_dscnt 0x0
	v_cmpx_ne_u32_e32 -1, v21
	s_cbranch_execz .LBB37_52
; %bb.58:                               ;   in Loop: Header=BB37_55 Depth=3
	s_mov_b32 s37, 0
	s_mov_b32 s35, exec_lo
	v_cmpx_ne_u32_e64 v21, v12
	s_cbranch_execz .LBB37_51
; %bb.59:                               ;   in Loop: Header=BB37_55 Depth=3
	v_add_nc_u32_e32 v14, 2, v15
	s_mov_b32 s38, -1
	s_mov_b32 s37, -1
	s_mov_b32 s36, exec_lo
	s_delay_alu instid0(VALU_DEP_1) | instskip(NEXT) | instid1(VALU_DEP_1)
	v_and_b32_e32 v14, 0x3ff, v14
	v_lshl_add_u32 v21, v14, 2, v18
	ds_load_b32 v21, v21
	s_wait_dscnt 0x0
	v_cmpx_ne_u32_e32 -1, v21
	s_cbranch_execz .LBB37_50
; %bb.60:                               ;   in Loop: Header=BB37_55 Depth=3
	s_mov_b32 s39, 0
	s_mov_b32 s37, exec_lo
	v_cmpx_ne_u32_e64 v21, v12
	s_cbranch_execz .LBB37_49
; %bb.61:                               ;   in Loop: Header=BB37_55 Depth=3
	v_add_nc_u32_e32 v14, 3, v15
	s_mov_b32 s40, -1
	s_mov_b32 s39, -1
	s_mov_b32 s38, exec_lo
	s_delay_alu instid0(VALU_DEP_1) | instskip(NEXT) | instid1(VALU_DEP_1)
	v_and_b32_e32 v14, 0x3ff, v14
	v_lshl_add_u32 v15, v14, 2, v18
	ds_load_b32 v21, v15
                                        ; implicit-def: $vgpr15
	s_wait_dscnt 0x0
	v_cmpx_ne_u32_e32 -1, v21
	s_cbranch_execz .LBB37_48
; %bb.62:                               ;   in Loop: Header=BB37_55 Depth=3
	s_mov_b32 s39, 0
	s_mov_b32 s41, exec_lo
                                        ; implicit-def: $vgpr15
	v_cmpx_ne_u32_e64 v21, v12
	s_cbranch_execz .LBB37_47
; %bb.63:                               ;   in Loop: Header=BB37_55 Depth=3
	v_add_nc_u32_e32 v13, -4, v13
	v_add_nc_u32_e32 v15, 1, v14
	s_mov_b32 s39, exec_lo
	s_delay_alu instid0(VALU_DEP_2)
	v_cmp_eq_u32_e32 vcc_lo, 0, v13
	s_or_not1_b32 s40, vcc_lo, exec_lo
	s_branch .LBB37_47
.LBB37_64:                              ;   in Loop: Header=BB37_46 Depth=2
	s_or_b32 exec_lo, exec_lo, s25
	s_xor_b32 s25, s26, -1
	s_wait_alu 0xfffe
	s_and_saveexec_b32 s26, s25
	s_delay_alu instid0(SALU_CYCLE_1)
	s_xor_b32 s25, exec_lo, s26
	s_cbranch_execz .LBB37_45
; %bb.65:                               ;   in Loop: Header=BB37_46 Depth=2
	v_lshl_add_u32 v12, v14, 2, v0
	v_lshlrev_b64_e32 v[14:15], 3, v[8:9]
	ds_load_b32 v12, v12
	v_add_co_u32 v14, vcc_lo, s8, v14
	s_wait_alu 0xfffd
	v_add_co_ci_u32_e64 v15, null, s9, v15, vcc_lo
	s_wait_dscnt 0x0
	v_ashrrev_i32_e32 v13, 31, v12
	s_delay_alu instid0(VALU_DEP_1) | instskip(NEXT) | instid1(VALU_DEP_1)
	v_lshlrev_b64_e32 v[12:13], 3, v[12:13]
	v_add_co_u32 v12, vcc_lo, s8, v12
	s_wait_alu 0xfffd
	s_delay_alu instid0(VALU_DEP_2)
	v_add_co_ci_u32_e64 v13, null, s9, v13, vcc_lo
	s_clause 0x1
	global_load_b64 v[14:15], v[14:15], off
	global_load_b64 v[21:22], v[12:13], off
	s_wait_loadcnt 0x0
	v_fma_f32 v21, -v10, v14, v21
	v_fma_f32 v9, -v11, v14, v22
	s_delay_alu instid0(VALU_DEP_2) | instskip(NEXT) | instid1(VALU_DEP_2)
	v_fmac_f32_e32 v21, v11, v15
	v_fma_f32 v22, -v10, v15, v9
	global_store_b64 v[12:13], v[21:22], off
	s_branch .LBB37_45
.LBB37_66:
	s_or_b32 exec_lo, exec_lo, s14
	s_delay_alu instid0(SALU_CYCLE_1)
	s_mov_b32 s4, exec_lo
	s_wait_loadcnt 0x0
	s_wait_storecnt 0x0
	global_inv scope:SCOPE_SE
	v_cmpx_lt_i32_e32 -1, v6
	s_cbranch_execz .LBB37_88
; %bb.67:
	v_mov_b32_e32 v7, 0
	s_mov_b32 s2, exec_lo
	s_delay_alu instid0(VALU_DEP_1) | instskip(NEXT) | instid1(VALU_DEP_1)
	v_lshlrev_b64_e32 v[8:9], 3, v[6:7]
	v_add_co_u32 v10, vcc_lo, s8, v8
	s_wait_alu 0xfffd
	s_delay_alu instid0(VALU_DEP_2)
	v_add_co_ci_u32_e64 v11, null, s9, v9, vcc_lo
	global_load_b64 v[8:9], v[10:11], off
	s_wait_loadcnt 0x0
	v_cmp_gt_f32_e32 vcc_lo, 0, v8
	s_wait_alu 0xfffd
	v_cndmask_b32_e64 v0, v8, -v8, vcc_lo
	v_cmp_gt_f32_e32 vcc_lo, 0, v9
	s_wait_alu 0xfffd
	v_cndmask_b32_e64 v6, v9, -v9, vcc_lo
	s_delay_alu instid0(VALU_DEP_1)
	v_cmpx_ngt_f32_e32 v0, v6
	s_wait_alu 0xfffe
	s_xor_b32 s5, exec_lo, s2
	s_cbranch_execz .LBB37_71
; %bb.68:
	s_mov_b32 s6, exec_lo
	v_cmpx_neq_f32_e32 0, v9
	s_cbranch_execz .LBB37_70
; %bb.69:
	v_div_scale_f32 v7, null, v6, v6, v0
	v_div_scale_f32 v14, vcc_lo, v0, v6, v0
	s_delay_alu instid0(VALU_DEP_2) | instskip(NEXT) | instid1(TRANS32_DEP_1)
	v_rcp_f32_e32 v12, v7
	v_fma_f32 v13, -v7, v12, 1.0
	s_delay_alu instid0(VALU_DEP_1) | instskip(NEXT) | instid1(VALU_DEP_1)
	v_fmac_f32_e32 v12, v13, v12
	v_mul_f32_e32 v13, v14, v12
	s_delay_alu instid0(VALU_DEP_1) | instskip(NEXT) | instid1(VALU_DEP_1)
	v_fma_f32 v15, -v7, v13, v14
	v_fmac_f32_e32 v13, v15, v12
	s_delay_alu instid0(VALU_DEP_1) | instskip(SKIP_1) | instid1(VALU_DEP_1)
	v_fma_f32 v7, -v7, v13, v14
	s_wait_alu 0xfffd
	v_div_fmas_f32 v7, v7, v12, v13
	s_delay_alu instid0(VALU_DEP_1) | instskip(NEXT) | instid1(VALU_DEP_1)
	v_div_fixup_f32 v0, v7, v6, v0
	v_fma_f32 v0, v0, v0, 1.0
	s_delay_alu instid0(VALU_DEP_1) | instskip(SKIP_2) | instid1(VALU_DEP_2)
	v_mul_f32_e32 v7, 0x4f800000, v0
	v_cmp_gt_f32_e32 vcc_lo, 0xf800000, v0
	s_wait_alu 0xfffd
	v_cndmask_b32_e32 v0, v0, v7, vcc_lo
	s_delay_alu instid0(VALU_DEP_1) | instskip(NEXT) | instid1(TRANS32_DEP_1)
	v_sqrt_f32_e32 v7, v0
	v_add_nc_u32_e32 v12, -1, v7
	v_add_nc_u32_e32 v13, 1, v7
	s_delay_alu instid0(VALU_DEP_2) | instskip(NEXT) | instid1(VALU_DEP_2)
	v_fma_f32 v14, -v12, v7, v0
	v_fma_f32 v15, -v13, v7, v0
	s_delay_alu instid0(VALU_DEP_2) | instskip(SKIP_1) | instid1(VALU_DEP_1)
	v_cmp_ge_f32_e64 s2, 0, v14
	s_wait_alu 0xf1ff
	v_cndmask_b32_e64 v7, v7, v12, s2
	s_delay_alu instid0(VALU_DEP_3) | instskip(SKIP_1) | instid1(VALU_DEP_1)
	v_cmp_lt_f32_e64 s2, 0, v15
	s_wait_alu 0xf1ff
	v_cndmask_b32_e64 v7, v7, v13, s2
	s_delay_alu instid0(VALU_DEP_1) | instskip(NEXT) | instid1(VALU_DEP_1)
	v_mul_f32_e32 v12, 0x37800000, v7
	v_cndmask_b32_e32 v7, v7, v12, vcc_lo
	v_cmp_class_f32_e64 vcc_lo, v0, 0x260
	s_wait_alu 0xfffd
	s_delay_alu instid0(VALU_DEP_2) | instskip(NEXT) | instid1(VALU_DEP_1)
	v_cndmask_b32_e32 v0, v7, v0, vcc_lo
	v_mul_f32_e32 v7, v6, v0
.LBB37_70:
	s_wait_alu 0xfffe
	s_or_b32 exec_lo, exec_lo, s6
                                        ; implicit-def: $vgpr0
                                        ; implicit-def: $vgpr6
.LBB37_71:
	s_wait_alu 0xfffe
	s_and_not1_saveexec_b32 s5, s5
	s_cbranch_execz .LBB37_73
; %bb.72:
	v_div_scale_f32 v7, null, v0, v0, v6
	v_div_scale_f32 v14, vcc_lo, v6, v0, v6
	s_delay_alu instid0(VALU_DEP_2) | instskip(NEXT) | instid1(TRANS32_DEP_1)
	v_rcp_f32_e32 v12, v7
	v_fma_f32 v13, -v7, v12, 1.0
	s_delay_alu instid0(VALU_DEP_1) | instskip(NEXT) | instid1(VALU_DEP_1)
	v_fmac_f32_e32 v12, v13, v12
	v_mul_f32_e32 v13, v14, v12
	s_delay_alu instid0(VALU_DEP_1) | instskip(NEXT) | instid1(VALU_DEP_1)
	v_fma_f32 v15, -v7, v13, v14
	v_fmac_f32_e32 v13, v15, v12
	s_delay_alu instid0(VALU_DEP_1) | instskip(SKIP_1) | instid1(VALU_DEP_1)
	v_fma_f32 v7, -v7, v13, v14
	s_wait_alu 0xfffd
	v_div_fmas_f32 v7, v7, v12, v13
	s_delay_alu instid0(VALU_DEP_1) | instskip(NEXT) | instid1(VALU_DEP_1)
	v_div_fixup_f32 v6, v7, v0, v6
	v_fma_f32 v6, v6, v6, 1.0
	s_delay_alu instid0(VALU_DEP_1) | instskip(SKIP_2) | instid1(VALU_DEP_2)
	v_mul_f32_e32 v7, 0x4f800000, v6
	v_cmp_gt_f32_e32 vcc_lo, 0xf800000, v6
	s_wait_alu 0xfffd
	v_cndmask_b32_e32 v6, v6, v7, vcc_lo
	s_delay_alu instid0(VALU_DEP_1) | instskip(NEXT) | instid1(TRANS32_DEP_1)
	v_sqrt_f32_e32 v7, v6
	v_add_nc_u32_e32 v12, -1, v7
	v_add_nc_u32_e32 v13, 1, v7
	s_delay_alu instid0(VALU_DEP_2) | instskip(NEXT) | instid1(VALU_DEP_2)
	v_fma_f32 v14, -v12, v7, v6
	v_fma_f32 v15, -v13, v7, v6
	s_delay_alu instid0(VALU_DEP_2) | instskip(SKIP_1) | instid1(VALU_DEP_1)
	v_cmp_ge_f32_e64 s2, 0, v14
	s_wait_alu 0xf1ff
	v_cndmask_b32_e64 v7, v7, v12, s2
	s_delay_alu instid0(VALU_DEP_3) | instskip(SKIP_1) | instid1(VALU_DEP_1)
	v_cmp_lt_f32_e64 s2, 0, v15
	s_wait_alu 0xf1ff
	v_cndmask_b32_e64 v7, v7, v13, s2
	s_delay_alu instid0(VALU_DEP_1) | instskip(NEXT) | instid1(VALU_DEP_1)
	v_mul_f32_e32 v12, 0x37800000, v7
	v_cndmask_b32_e32 v7, v7, v12, vcc_lo
	v_cmp_class_f32_e64 vcc_lo, v6, 0x260
	s_wait_alu 0xfffd
	s_delay_alu instid0(VALU_DEP_2) | instskip(NEXT) | instid1(VALU_DEP_1)
	v_cndmask_b32_e32 v6, v7, v6, vcc_lo
	v_mul_f32_e32 v7, v0, v6
.LBB37_73:
	s_wait_alu 0xfffe
	s_or_b32 exec_lo, exec_lo, s5
	s_delay_alu instid0(VALU_DEP_1)
	v_cvt_f64_f32_e32 v[6:7], v7
	v_cmp_ne_u32_e32 vcc_lo, 1, v17
	v_cmp_eq_u32_e64 s2, 0, v16
	s_mov_b32 s5, -1
	s_cbranch_vccnz .LBB37_77
; %bb.74:
	v_cvt_f64_f32_e32 v[12:13], s29
	s_cmp_eq_u64 s[20:21], 8
	s_cselect_b32 vcc_lo, -1, 0
	s_wait_alu 0xfffe
	s_delay_alu instid0(VALU_DEP_1) | instskip(NEXT) | instid1(VALU_DEP_1)
	v_dual_cndmask_b32 v4, v13, v4 :: v_dual_cndmask_b32 v3, v12, v3
	v_cmp_ge_f64_e32 vcc_lo, v[3:4], v[6:7]
	s_and_b32 s6, s2, vcc_lo
	s_wait_alu 0xfffe
	s_and_saveexec_b32 s5, s6
	s_cbranch_execz .LBB37_76
; %bb.75:
	v_dual_mov_b32 v3, s3 :: v_dual_mov_b32 v4, s22
	global_store_b64 v[10:11], v[3:4], off
	s_wait_storecnt 0x0
	global_inv scope:SCOPE_DEV
.LBB37_76:
	s_wait_alu 0xfffe
	s_or_b32 exec_lo, exec_lo, s5
	s_mov_b32 s5, 0
.LBB37_77:
	s_wait_alu 0xfffe
	s_and_not1_b32 vcc_lo, exec_lo, s5
	s_wait_alu 0xfffe
	s_cbranch_vccnz .LBB37_88
; %bb.78:
	s_load_b64 s[0:1], s[0:1], 0x48
	v_add_nc_u32_e32 v0, s28, v5
	s_wait_kmcnt 0x0
	v_cmp_ge_f64_e32 vcc_lo, s[0:1], v[6:7]
	s_and_b32 s1, s2, vcc_lo
	s_wait_alu 0xfffe
	s_and_saveexec_b32 s0, s1
	s_cbranch_execz .LBB37_83
; %bb.79:
	s_mov_b32 s3, exec_lo
	s_brev_b32 s1, -2
.LBB37_80:                              ; =>This Inner Loop Header: Depth=1
	s_wait_alu 0xfffe
	s_ctz_i32_b32 s5, s3
	s_wait_alu 0xfffe
	v_readlane_b32 s6, v0, s5
	s_lshl_b32 s5, 1, s5
	s_wait_alu 0xfffe
	s_and_not1_b32 s3, s3, s5
	s_min_i32 s1, s1, s6
	s_wait_alu 0xfffe
	s_cmp_lg_u32 s3, 0
	s_cbranch_scc1 .LBB37_80
; %bb.81:
	v_mbcnt_lo_u32_b32 v3, exec_lo, 0
	s_mov_b32 s3, exec_lo
	s_delay_alu instid0(VALU_DEP_1)
	v_cmpx_eq_u32_e32 0, v3
	s_wait_alu 0xfffe
	s_xor_b32 s3, exec_lo, s3
	s_cbranch_execz .LBB37_83
; %bb.82:
	v_dual_mov_b32 v3, 0 :: v_dual_mov_b32 v4, s1
	global_atomic_min_i32 v3, v4, s[18:19] scope:SCOPE_DEV
.LBB37_83:
	s_wait_alu 0xfffe
	s_or_b32 exec_lo, exec_lo, s0
	v_cmp_eq_f32_e32 vcc_lo, 0, v8
	v_cmp_eq_f32_e64 s0, 0, v9
	s_and_b32 s0, vcc_lo, s0
	s_wait_alu 0xfffe
	s_and_b32 s0, s2, s0
	s_wait_alu 0xfffe
	s_and_b32 exec_lo, exec_lo, s0
	s_cbranch_execz .LBB37_88
; %bb.84:
	s_mov_b32 s1, exec_lo
	s_brev_b32 s0, -2
.LBB37_85:                              ; =>This Inner Loop Header: Depth=1
	s_wait_alu 0xfffe
	s_ctz_i32_b32 s2, s1
	s_wait_alu 0xfffe
	v_readlane_b32 s3, v0, s2
	s_lshl_b32 s2, 1, s2
	s_wait_alu 0xfffe
	s_and_not1_b32 s1, s1, s2
	s_min_i32 s0, s0, s3
	s_wait_alu 0xfffe
	s_cmp_lg_u32 s1, 0
	s_cbranch_scc1 .LBB37_85
; %bb.86:
	v_mbcnt_lo_u32_b32 v0, exec_lo, 0
	s_mov_b32 s1, exec_lo
	s_delay_alu instid0(VALU_DEP_1)
	v_cmpx_eq_u32_e32 0, v0
	s_wait_alu 0xfffe
	s_xor_b32 s1, exec_lo, s1
	s_cbranch_execz .LBB37_88
; %bb.87:
	v_dual_mov_b32 v0, 0 :: v_dual_mov_b32 v3, s0
	global_atomic_min_i32 v0, v3, s[16:17] scope:SCOPE_DEV
.LBB37_88:
	s_wait_alu 0xfffe
	s_or_b32 exec_lo, exec_lo, s4
	v_cmp_eq_u32_e32 vcc_lo, 0, v16
	s_wait_loadcnt 0x0
	s_wait_storecnt 0x0
	global_inv scope:SCOPE_DEV
	s_and_b32 exec_lo, exec_lo, vcc_lo
	s_cbranch_execz .LBB37_90
; %bb.89:
	v_add_co_u32 v0, vcc_lo, s12, v1
	s_wait_alu 0xfffd
	v_add_co_ci_u32_e64 v1, null, s13, v2, vcc_lo
	v_mov_b32_e32 v2, 1
	s_wait_loadcnt 0x0
	global_store_b32 v[0:1], v2, off scope:SCOPE_DEV
.LBB37_90:
	s_endpgm
	.section	.rodata,"a",@progbits
	.p2align	6, 0x0
	.amdhsa_kernel _ZN9rocsparseL12csrilu0_hashILj256ELj64ELj16E21rocsparse_complex_numIfEEEviPKiS4_PT2_S4_PiS4_S7_S7_d21rocsparse_index_base_imNS_24const_host_device_scalarIfEENS9_IdEENS9_IS5_EEb
		.amdhsa_group_segment_fixed_size 32768
		.amdhsa_private_segment_fixed_size 0
		.amdhsa_kernarg_size 124
		.amdhsa_user_sgpr_count 2
		.amdhsa_user_sgpr_dispatch_ptr 0
		.amdhsa_user_sgpr_queue_ptr 0
		.amdhsa_user_sgpr_kernarg_segment_ptr 1
		.amdhsa_user_sgpr_dispatch_id 0
		.amdhsa_user_sgpr_private_segment_size 0
		.amdhsa_wavefront_size32 1
		.amdhsa_uses_dynamic_stack 0
		.amdhsa_enable_private_segment 0
		.amdhsa_system_sgpr_workgroup_id_x 1
		.amdhsa_system_sgpr_workgroup_id_y 0
		.amdhsa_system_sgpr_workgroup_id_z 0
		.amdhsa_system_sgpr_workgroup_info 0
		.amdhsa_system_vgpr_workitem_id 0
		.amdhsa_next_free_vgpr 169
		.amdhsa_next_free_sgpr 42
		.amdhsa_reserve_vcc 1
		.amdhsa_float_round_mode_32 0
		.amdhsa_float_round_mode_16_64 0
		.amdhsa_float_denorm_mode_32 3
		.amdhsa_float_denorm_mode_16_64 3
		.amdhsa_fp16_overflow 0
		.amdhsa_workgroup_processor_mode 1
		.amdhsa_memory_ordered 1
		.amdhsa_forward_progress 1
		.amdhsa_inst_pref_size 32
		.amdhsa_round_robin_scheduling 0
		.amdhsa_exception_fp_ieee_invalid_op 0
		.amdhsa_exception_fp_denorm_src 0
		.amdhsa_exception_fp_ieee_div_zero 0
		.amdhsa_exception_fp_ieee_overflow 0
		.amdhsa_exception_fp_ieee_underflow 0
		.amdhsa_exception_fp_ieee_inexact 0
		.amdhsa_exception_int_div_zero 0
	.end_amdhsa_kernel
	.section	.text._ZN9rocsparseL12csrilu0_hashILj256ELj64ELj16E21rocsparse_complex_numIfEEEviPKiS4_PT2_S4_PiS4_S7_S7_d21rocsparse_index_base_imNS_24const_host_device_scalarIfEENS9_IdEENS9_IS5_EEb,"axG",@progbits,_ZN9rocsparseL12csrilu0_hashILj256ELj64ELj16E21rocsparse_complex_numIfEEEviPKiS4_PT2_S4_PiS4_S7_S7_d21rocsparse_index_base_imNS_24const_host_device_scalarIfEENS9_IdEENS9_IS5_EEb,comdat
.Lfunc_end37:
	.size	_ZN9rocsparseL12csrilu0_hashILj256ELj64ELj16E21rocsparse_complex_numIfEEEviPKiS4_PT2_S4_PiS4_S7_S7_d21rocsparse_index_base_imNS_24const_host_device_scalarIfEENS9_IdEENS9_IS5_EEb, .Lfunc_end37-_ZN9rocsparseL12csrilu0_hashILj256ELj64ELj16E21rocsparse_complex_numIfEEEviPKiS4_PT2_S4_PiS4_S7_S7_d21rocsparse_index_base_imNS_24const_host_device_scalarIfEENS9_IdEENS9_IS5_EEb
                                        ; -- End function
	.set _ZN9rocsparseL12csrilu0_hashILj256ELj64ELj16E21rocsparse_complex_numIfEEEviPKiS4_PT2_S4_PiS4_S7_S7_d21rocsparse_index_base_imNS_24const_host_device_scalarIfEENS9_IdEENS9_IS5_EEb.num_vgpr, 26
	.set _ZN9rocsparseL12csrilu0_hashILj256ELj64ELj16E21rocsparse_complex_numIfEEEviPKiS4_PT2_S4_PiS4_S7_S7_d21rocsparse_index_base_imNS_24const_host_device_scalarIfEENS9_IdEENS9_IS5_EEb.num_agpr, 0
	.set _ZN9rocsparseL12csrilu0_hashILj256ELj64ELj16E21rocsparse_complex_numIfEEEviPKiS4_PT2_S4_PiS4_S7_S7_d21rocsparse_index_base_imNS_24const_host_device_scalarIfEENS9_IdEENS9_IS5_EEb.numbered_sgpr, 42
	.set _ZN9rocsparseL12csrilu0_hashILj256ELj64ELj16E21rocsparse_complex_numIfEEEviPKiS4_PT2_S4_PiS4_S7_S7_d21rocsparse_index_base_imNS_24const_host_device_scalarIfEENS9_IdEENS9_IS5_EEb.num_named_barrier, 0
	.set _ZN9rocsparseL12csrilu0_hashILj256ELj64ELj16E21rocsparse_complex_numIfEEEviPKiS4_PT2_S4_PiS4_S7_S7_d21rocsparse_index_base_imNS_24const_host_device_scalarIfEENS9_IdEENS9_IS5_EEb.private_seg_size, 0
	.set _ZN9rocsparseL12csrilu0_hashILj256ELj64ELj16E21rocsparse_complex_numIfEEEviPKiS4_PT2_S4_PiS4_S7_S7_d21rocsparse_index_base_imNS_24const_host_device_scalarIfEENS9_IdEENS9_IS5_EEb.uses_vcc, 1
	.set _ZN9rocsparseL12csrilu0_hashILj256ELj64ELj16E21rocsparse_complex_numIfEEEviPKiS4_PT2_S4_PiS4_S7_S7_d21rocsparse_index_base_imNS_24const_host_device_scalarIfEENS9_IdEENS9_IS5_EEb.uses_flat_scratch, 0
	.set _ZN9rocsparseL12csrilu0_hashILj256ELj64ELj16E21rocsparse_complex_numIfEEEviPKiS4_PT2_S4_PiS4_S7_S7_d21rocsparse_index_base_imNS_24const_host_device_scalarIfEENS9_IdEENS9_IS5_EEb.has_dyn_sized_stack, 0
	.set _ZN9rocsparseL12csrilu0_hashILj256ELj64ELj16E21rocsparse_complex_numIfEEEviPKiS4_PT2_S4_PiS4_S7_S7_d21rocsparse_index_base_imNS_24const_host_device_scalarIfEENS9_IdEENS9_IS5_EEb.has_recursion, 0
	.set _ZN9rocsparseL12csrilu0_hashILj256ELj64ELj16E21rocsparse_complex_numIfEEEviPKiS4_PT2_S4_PiS4_S7_S7_d21rocsparse_index_base_imNS_24const_host_device_scalarIfEENS9_IdEENS9_IS5_EEb.has_indirect_call, 0
	.section	.AMDGPU.csdata,"",@progbits
; Kernel info:
; codeLenInByte = 3972
; TotalNumSgprs: 44
; NumVgprs: 26
; ScratchSize: 0
; MemoryBound: 0
; FloatMode: 240
; IeeeMode: 1
; LDSByteSize: 32768 bytes/workgroup (compile time only)
; SGPRBlocks: 0
; VGPRBlocks: 21
; NumSGPRsForWavesPerEU: 44
; NumVGPRsForWavesPerEU: 169
; Occupancy: 8
; WaveLimiterHint : 1
; COMPUTE_PGM_RSRC2:SCRATCH_EN: 0
; COMPUTE_PGM_RSRC2:USER_SGPR: 2
; COMPUTE_PGM_RSRC2:TRAP_HANDLER: 0
; COMPUTE_PGM_RSRC2:TGID_X_EN: 1
; COMPUTE_PGM_RSRC2:TGID_Y_EN: 0
; COMPUTE_PGM_RSRC2:TGID_Z_EN: 0
; COMPUTE_PGM_RSRC2:TIDIG_COMP_CNT: 0
	.section	.text._ZN9rocsparseL17csrilu0_binsearchILj256ELj64ELb0E21rocsparse_complex_numIfEEEviPKiS4_PT2_S4_PiS4_S7_S7_d21rocsparse_index_base_imNS_24const_host_device_scalarIfEENS9_IdEENS9_IS5_EEb,"axG",@progbits,_ZN9rocsparseL17csrilu0_binsearchILj256ELj64ELb0E21rocsparse_complex_numIfEEEviPKiS4_PT2_S4_PiS4_S7_S7_d21rocsparse_index_base_imNS_24const_host_device_scalarIfEENS9_IdEENS9_IS5_EEb,comdat
	.globl	_ZN9rocsparseL17csrilu0_binsearchILj256ELj64ELb0E21rocsparse_complex_numIfEEEviPKiS4_PT2_S4_PiS4_S7_S7_d21rocsparse_index_base_imNS_24const_host_device_scalarIfEENS9_IdEENS9_IS5_EEb ; -- Begin function _ZN9rocsparseL17csrilu0_binsearchILj256ELj64ELb0E21rocsparse_complex_numIfEEEviPKiS4_PT2_S4_PiS4_S7_S7_d21rocsparse_index_base_imNS_24const_host_device_scalarIfEENS9_IdEENS9_IS5_EEb
	.p2align	8
	.type	_ZN9rocsparseL17csrilu0_binsearchILj256ELj64ELb0E21rocsparse_complex_numIfEEEviPKiS4_PT2_S4_PiS4_S7_S7_d21rocsparse_index_base_imNS_24const_host_device_scalarIfEENS9_IdEENS9_IS5_EEb,@function
_ZN9rocsparseL17csrilu0_binsearchILj256ELj64ELb0E21rocsparse_complex_numIfEEEviPKiS4_PT2_S4_PiS4_S7_S7_d21rocsparse_index_base_imNS_24const_host_device_scalarIfEENS9_IdEENS9_IS5_EEb: ; @_ZN9rocsparseL17csrilu0_binsearchILj256ELj64ELb0E21rocsparse_complex_numIfEEEviPKiS4_PT2_S4_PiS4_S7_S7_d21rocsparse_index_base_imNS_24const_host_device_scalarIfEENS9_IdEENS9_IS5_EEb
; %bb.0:
	s_clause 0x2
	s_load_b32 s2, s[0:1], 0x78
	s_load_b64 s[28:29], s[0:1], 0x50
	s_load_b256 s[20:27], s[0:1], 0x58
	s_wait_kmcnt 0x0
	s_bitcmp1_b32 s2, 0
	s_cselect_b32 s4, -1, 0
	s_cmp_eq_u32 s29, 0
	s_cselect_b32 s2, -1, 0
	s_cmp_lg_u32 s29, 0
	s_cselect_b32 s5, -1, 0
	s_or_b32 s7, s2, s4
	s_delay_alu instid0(SALU_CYCLE_1)
	s_xor_b32 s6, s7, -1
	s_and_b32 s2, s2, exec_lo
	s_cselect_b32 s3, 0, s25
	s_cselect_b32 s2, 0, s24
	;; [unrolled: 1-line block ×3, first 2 shown]
	s_and_b32 vcc_lo, exec_lo, s7
	s_cbranch_vccnz .LBB38_2
; %bb.1:
	s_load_b32 s29, s[22:23], 0x0
	s_mov_b64 s[2:3], s[24:25]
.LBB38_2:
	s_delay_alu instid0(SALU_CYCLE_1)
	v_dual_mov_b32 v4, s3 :: v_dual_mov_b32 v3, s2
	s_and_not1_b32 vcc_lo, exec_lo, s6
	s_cbranch_vccnz .LBB38_4
; %bb.3:
	v_dual_mov_b32 v1, s24 :: v_dual_mov_b32 v2, s25
	flat_load_b64 v[3:4], v[1:2]
.LBB38_4:
	v_cndmask_b32_e64 v16, 0, 1, s5
	s_mov_b32 s3, 0
	s_and_not1_b32 vcc_lo, exec_lo, s5
	s_mov_b32 s22, 0
	s_cbranch_vccnz .LBB38_10
; %bb.5:
	s_xor_b32 s2, s4, -1
	s_mov_b32 s3, s26
	s_wait_alu 0xfffe
	v_cndmask_b32_e64 v1, 0, 1, s2
	s_and_not1_b32 vcc_lo, exec_lo, s2
	s_cbranch_vccnz .LBB38_7
; %bb.6:
	s_load_b32 s3, s[26:27], 0x0
.LBB38_7:
	s_delay_alu instid0(VALU_DEP_1)
	v_cmp_ne_u32_e32 vcc_lo, 1, v1
	s_cbranch_vccnz .LBB38_9
; %bb.8:
	s_load_b32 s27, s[26:27], 0x4
.LBB38_9:
	s_wait_kmcnt 0x0
	s_mov_b32 s22, s27
.LBB38_10:
	s_load_b32 s2, s[0:1], 0x0
	v_lshrrev_b32_e32 v1, 6, v0
	s_lshl_b32 s4, ttmp9, 2
	s_wait_alu 0xfffe
	s_delay_alu instid0(VALU_DEP_1) | instskip(SKIP_1) | instid1(VALU_DEP_1)
	v_and_or_b32 v1, 0x3fffffc, s4, v1
	s_wait_kmcnt 0x0
	v_cmp_gt_i32_e32 vcc_lo, s2, v1
	s_and_saveexec_b32 s2, vcc_lo
	s_cbranch_execz .LBB38_52
; %bb.11:
	s_load_b512 s[4:19], s[0:1], 0x8
	v_lshlrev_b32_e32 v1, 2, v1
	v_and_b32_e32 v0, 63, v0
	s_wait_kmcnt 0x0
	global_load_b32 v5, v1, s[14:15]
	s_mov_b32 s14, exec_lo
	s_wait_loadcnt 0x0
	v_ashrrev_i32_e32 v6, 31, v5
	s_delay_alu instid0(VALU_DEP_1) | instskip(NEXT) | instid1(VALU_DEP_1)
	v_lshlrev_b64_e32 v[1:2], 2, v[5:6]
	v_add_co_u32 v8, vcc_lo, s4, v1
	s_delay_alu instid0(VALU_DEP_1)
	v_add_co_ci_u32_e64 v9, null, s5, v2, vcc_lo
	v_add_co_u32 v6, vcc_lo, s10, v1
	s_wait_alu 0xfffd
	v_add_co_ci_u32_e64 v7, null, s11, v2, vcc_lo
	global_load_b32 v10, v[8:9], off
	global_load_b32 v6, v[6:7], off
	s_wait_loadcnt 0x1
	v_subrev_nc_u32_e32 v7, s28, v10
	s_wait_loadcnt 0x0
	s_delay_alu instid0(VALU_DEP_1)
	v_cmpx_lt_i32_e64 v7, v6
	s_cbranch_execz .LBB38_28
; %bb.12:
	global_load_b32 v8, v[8:9], off offset:4
	v_add_nc_u32_e32 v17, 1, v0
	s_mov_b32 s15, 0
	s_wait_loadcnt 0x0
	v_xad_u32 v18, s28, -1, v8
	s_branch .LBB38_15
.LBB38_13:                              ;   in Loop: Header=BB38_15 Depth=1
	s_or_b32 exec_lo, exec_lo, s23
	v_cmp_ge_i32_e32 vcc_lo, v7, v6
	s_or_not1_b32 s23, vcc_lo, exec_lo
.LBB38_14:                              ;   in Loop: Header=BB38_15 Depth=1
	s_wait_alu 0xfffe
	s_or_b32 exec_lo, exec_lo, s2
	s_delay_alu instid0(SALU_CYCLE_1) | instskip(SKIP_2) | instid1(SALU_CYCLE_1)
	s_and_b32 s2, exec_lo, s23
	s_wait_alu 0xfffe
	s_or_b32 s15, s2, s15
	s_and_not1_b32 exec_lo, exec_lo, s15
	s_cbranch_execz .LBB38_28
.LBB38_15:                              ; =>This Loop Header: Depth=1
                                        ;     Child Loop BB38_17 Depth 2
                                        ;     Child Loop BB38_22 Depth 2
                                        ;       Child Loop BB38_24 Depth 3
	v_ashrrev_i32_e32 v8, 31, v7
	s_mov_b32 s2, exec_lo
	s_delay_alu instid0(VALU_DEP_1) | instskip(SKIP_1) | instid1(VALU_DEP_2)
	v_lshlrev_b64_e32 v[9:10], 2, v[7:8]
	v_lshlrev_b64_e32 v[12:13], 3, v[7:8]
	v_add_co_u32 v9, vcc_lo, s6, v9
	s_wait_alu 0xfffd
	s_delay_alu instid0(VALU_DEP_3) | instskip(NEXT) | instid1(VALU_DEP_3)
	v_add_co_ci_u32_e64 v10, null, s7, v10, vcc_lo
	v_add_co_u32 v12, vcc_lo, s8, v12
	s_wait_alu 0xfffd
	v_add_co_ci_u32_e64 v13, null, s9, v13, vcc_lo
	global_load_b32 v9, v[9:10], off
	s_wait_loadcnt 0x0
	v_subrev_nc_u32_e32 v9, s28, v9
	s_delay_alu instid0(VALU_DEP_1) | instskip(NEXT) | instid1(VALU_DEP_1)
	v_ashrrev_i32_e32 v10, 31, v9
	v_lshlrev_b64_e32 v[8:9], 2, v[9:10]
	s_delay_alu instid0(VALU_DEP_1) | instskip(SKIP_1) | instid1(VALU_DEP_2)
	v_add_co_u32 v14, vcc_lo, s4, v8
	s_wait_alu 0xfffd
	v_add_co_ci_u32_e64 v15, null, s5, v9, vcc_lo
	v_add_co_u32 v19, vcc_lo, s10, v8
	s_wait_alu 0xfffd
	v_add_co_ci_u32_e64 v20, null, s11, v9, vcc_lo
	;; [unrolled: 3-line block ×3, first 2 shown]
	global_load_b64 v[8:9], v[12:13], off
	global_load_b32 v15, v[14:15], off offset:4
	global_load_b32 v14, v[19:20], off
	global_load_b32 v19, v[10:11], off scope:SCOPE_DEV
	s_wait_loadcnt 0x0
	v_cmpx_eq_u32_e32 0, v19
	s_cbranch_execz .LBB38_18
; %bb.16:                               ;   in Loop: Header=BB38_15 Depth=1
	s_mov_b32 s23, 0
.LBB38_17:                              ;   Parent Loop BB38_15 Depth=1
                                        ; =>  This Inner Loop Header: Depth=2
	global_load_b32 v19, v[10:11], off scope:SCOPE_DEV
	s_wait_loadcnt 0x0
	v_cmp_ne_u32_e32 vcc_lo, 0, v19
	s_or_b32 s23, vcc_lo, s23
	s_delay_alu instid0(SALU_CYCLE_1)
	s_and_not1_b32 exec_lo, exec_lo, s23
	s_cbranch_execnz .LBB38_17
.LBB38_18:                              ;   in Loop: Header=BB38_15 Depth=1
	s_wait_alu 0xfffe
	s_or_b32 exec_lo, exec_lo, s2
	v_subrev_nc_u32_e32 v19, s28, v15
	v_cmp_eq_u32_e32 vcc_lo, -1, v14
	s_wait_dscnt 0x0
	global_inv scope:SCOPE_DEV
	s_mov_b32 s23, -1
	v_add_nc_u32_e32 v10, -1, v19
	s_wait_alu 0xfffd
	s_delay_alu instid0(VALU_DEP_1) | instskip(NEXT) | instid1(VALU_DEP_1)
	v_cndmask_b32_e32 v10, v14, v10, vcc_lo
	v_ashrrev_i32_e32 v11, 31, v10
	s_delay_alu instid0(VALU_DEP_1) | instskip(NEXT) | instid1(VALU_DEP_1)
	v_lshlrev_b64_e32 v[14:15], 3, v[10:11]
	v_add_co_u32 v14, vcc_lo, s8, v14
	s_wait_alu 0xfffd
	s_delay_alu instid0(VALU_DEP_2)
	v_add_co_ci_u32_e64 v15, null, s9, v15, vcc_lo
	global_load_b64 v[14:15], v[14:15], off
	s_wait_loadcnt 0x0
	v_cmp_neq_f32_e32 vcc_lo, 0, v14
	v_cmp_neq_f32_e64 s2, 0, v15
	s_or_b32 s2, vcc_lo, s2
	s_wait_alu 0xfffe
	s_and_saveexec_b32 s24, s2
	s_wait_alu 0xfffe
	s_xor_b32 s2, exec_lo, s24
	s_cbranch_execz .LBB38_14
; %bb.19:                               ;   in Loop: Header=BB38_15 Depth=1
	v_mul_f32_e32 v11, v15, v15
	v_add_nc_u32_e32 v7, 1, v7
	s_mov_b32 s23, exec_lo
	s_delay_alu instid0(VALU_DEP_2) | instskip(NEXT) | instid1(VALU_DEP_1)
	v_fmac_f32_e32 v11, v14, v14
	v_div_scale_f32 v20, null, v11, v11, 1.0
	v_div_scale_f32 v23, vcc_lo, 1.0, v11, 1.0
	s_delay_alu instid0(VALU_DEP_2) | instskip(NEXT) | instid1(TRANS32_DEP_1)
	v_rcp_f32_e32 v21, v20
	v_fma_f32 v22, -v20, v21, 1.0
	s_delay_alu instid0(VALU_DEP_1) | instskip(NEXT) | instid1(VALU_DEP_1)
	v_fmac_f32_e32 v21, v22, v21
	v_mul_f32_e32 v22, v23, v21
	s_delay_alu instid0(VALU_DEP_1) | instskip(NEXT) | instid1(VALU_DEP_1)
	v_fma_f32 v24, -v20, v22, v23
	v_fmac_f32_e32 v22, v24, v21
	s_delay_alu instid0(VALU_DEP_1) | instskip(SKIP_2) | instid1(VALU_DEP_2)
	v_fma_f32 v20, -v20, v22, v23
	v_mul_f32_e32 v23, v9, v15
	v_mul_f32_e64 v15, v15, -v8
	v_fmac_f32_e32 v23, v8, v14
	v_add_nc_u32_e32 v8, v17, v10
	s_wait_alu 0xfffd
	v_div_fmas_f32 v20, v20, v21, v22
	s_delay_alu instid0(VALU_DEP_1) | instskip(NEXT) | instid1(VALU_DEP_1)
	v_div_fixup_f32 v11, v20, v11, 1.0
	v_dual_fmac_f32 v15, v9, v14 :: v_dual_mul_f32 v10, v23, v11
	s_delay_alu instid0(VALU_DEP_1)
	v_mul_f32_e32 v11, v15, v11
	global_store_b64 v[12:13], v[10:11], off
	v_cmpx_lt_i32_e64 v8, v19
	s_cbranch_execz .LBB38_13
; %bb.20:                               ;   in Loop: Header=BB38_15 Depth=1
	v_mov_b32_e32 v12, v7
	s_mov_b32 s24, 0
	s_branch .LBB38_22
.LBB38_21:                              ;   in Loop: Header=BB38_22 Depth=2
	s_wait_alu 0xfffe
	s_or_b32 exec_lo, exec_lo, s25
	v_add_nc_u32_e32 v8, 64, v8
	s_delay_alu instid0(VALU_DEP_1)
	v_cmp_ge_i32_e32 vcc_lo, v8, v19
	s_or_b32 s24, vcc_lo, s24
	s_wait_alu 0xfffe
	s_and_not1_b32 exec_lo, exec_lo, s24
	s_cbranch_execz .LBB38_13
.LBB38_22:                              ;   Parent Loop BB38_15 Depth=1
                                        ; =>  This Loop Header: Depth=2
                                        ;       Child Loop BB38_24 Depth 3
	s_delay_alu instid0(VALU_DEP_1) | instskip(SKIP_1) | instid1(VALU_DEP_1)
	v_add_nc_u32_e32 v9, v12, v18
	s_mov_b32 s25, exec_lo
	v_ashrrev_i32_e32 v13, 1, v9
	v_ashrrev_i32_e32 v9, 31, v8
	s_delay_alu instid0(VALU_DEP_2) | instskip(NEXT) | instid1(VALU_DEP_2)
	v_ashrrev_i32_e32 v14, 31, v13
	v_lshlrev_b64_e32 v[20:21], 2, v[8:9]
	s_delay_alu instid0(VALU_DEP_2) | instskip(NEXT) | instid1(VALU_DEP_2)
	v_lshlrev_b64_e32 v[14:15], 2, v[13:14]
	v_add_co_u32 v20, vcc_lo, s6, v20
	s_wait_alu 0xfffd
	s_delay_alu instid0(VALU_DEP_3) | instskip(NEXT) | instid1(VALU_DEP_3)
	v_add_co_ci_u32_e64 v21, null, s7, v21, vcc_lo
	v_add_co_u32 v22, vcc_lo, s6, v14
	s_wait_alu 0xfffd
	v_add_co_ci_u32_e64 v23, null, s7, v15, vcc_lo
	s_clause 0x1
	global_load_b32 v15, v[20:21], off
	global_load_b32 v14, v[22:23], off
	v_cmpx_lt_i32_e64 v12, v18
	s_cbranch_execz .LBB38_26
; %bb.23:                               ;   in Loop: Header=BB38_22 Depth=2
	v_mov_b32_e32 v20, v18
	s_mov_b32 s26, 0
.LBB38_24:                              ;   Parent Loop BB38_15 Depth=1
                                        ;     Parent Loop BB38_22 Depth=2
                                        ; =>    This Inner Loop Header: Depth=3
	s_wait_loadcnt 0x0
	v_cmp_lt_i32_e32 vcc_lo, v14, v15
	s_wait_alu 0xfffd
	v_dual_cndmask_b32 v20, v13, v20 :: v_dual_add_nc_u32 v21, 1, v13
	s_delay_alu instid0(VALU_DEP_1) | instskip(NEXT) | instid1(VALU_DEP_1)
	v_cndmask_b32_e32 v12, v12, v21, vcc_lo
	v_add_nc_u32_e32 v13, v20, v12
	s_delay_alu instid0(VALU_DEP_1) | instskip(NEXT) | instid1(VALU_DEP_1)
	v_ashrrev_i32_e32 v13, 1, v13
	v_ashrrev_i32_e32 v14, 31, v13
	s_delay_alu instid0(VALU_DEP_1) | instskip(NEXT) | instid1(VALU_DEP_1)
	v_lshlrev_b64_e32 v[21:22], 2, v[13:14]
	v_add_co_u32 v21, vcc_lo, s6, v21
	s_wait_alu 0xfffd
	s_delay_alu instid0(VALU_DEP_2) | instskip(SKIP_3) | instid1(SALU_CYCLE_1)
	v_add_co_ci_u32_e64 v22, null, s7, v22, vcc_lo
	v_cmp_ge_i32_e32 vcc_lo, v12, v20
	global_load_b32 v14, v[21:22], off
	s_or_b32 s26, vcc_lo, s26
	s_and_not1_b32 exec_lo, exec_lo, s26
	s_cbranch_execnz .LBB38_24
; %bb.25:                               ;   in Loop: Header=BB38_22 Depth=2
	s_or_b32 exec_lo, exec_lo, s26
.LBB38_26:                              ;   in Loop: Header=BB38_22 Depth=2
	s_wait_alu 0xfffe
	s_or_b32 exec_lo, exec_lo, s25
	s_delay_alu instid0(SALU_CYCLE_1)
	s_mov_b32 s25, exec_lo
	s_wait_loadcnt 0x0
	v_cmpx_eq_u32_e64 v14, v15
	s_cbranch_execz .LBB38_21
; %bb.27:                               ;   in Loop: Header=BB38_22 Depth=2
	v_ashrrev_i32_e32 v13, 31, v12
	v_lshlrev_b64_e32 v[14:15], 3, v[8:9]
	s_delay_alu instid0(VALU_DEP_2) | instskip(NEXT) | instid1(VALU_DEP_2)
	v_lshlrev_b64_e32 v[20:21], 3, v[12:13]
	v_add_co_u32 v13, vcc_lo, s8, v14
	s_wait_alu 0xfffd
	s_delay_alu instid0(VALU_DEP_3) | instskip(NEXT) | instid1(VALU_DEP_3)
	v_add_co_ci_u32_e64 v14, null, s9, v15, vcc_lo
	v_add_co_u32 v20, vcc_lo, s8, v20
	s_wait_alu 0xfffd
	v_add_co_ci_u32_e64 v21, null, s9, v21, vcc_lo
	s_clause 0x1
	global_load_b64 v[13:14], v[13:14], off
	global_load_b64 v[22:23], v[20:21], off
	s_wait_loadcnt 0x0
	v_fma_f32 v22, -v10, v13, v22
	v_fma_f32 v9, -v11, v13, v23
	s_delay_alu instid0(VALU_DEP_2) | instskip(NEXT) | instid1(VALU_DEP_2)
	v_fmac_f32_e32 v22, v11, v14
	v_fma_f32 v23, -v10, v14, v9
	global_store_b64 v[20:21], v[22:23], off
	s_branch .LBB38_21
.LBB38_28:
	s_or_b32 exec_lo, exec_lo, s14
	s_delay_alu instid0(SALU_CYCLE_1)
	s_mov_b32 s4, exec_lo
	s_wait_storecnt_dscnt 0x0
	global_inv scope:SCOPE_SE
	v_cmpx_lt_i32_e32 -1, v6
	s_cbranch_execz .LBB38_50
; %bb.29:
	v_mov_b32_e32 v7, 0
	s_mov_b32 s2, exec_lo
	s_delay_alu instid0(VALU_DEP_1) | instskip(NEXT) | instid1(VALU_DEP_1)
	v_lshlrev_b64_e32 v[8:9], 3, v[6:7]
	v_add_co_u32 v10, vcc_lo, s8, v8
	s_wait_alu 0xfffd
	s_delay_alu instid0(VALU_DEP_2)
	v_add_co_ci_u32_e64 v11, null, s9, v9, vcc_lo
	global_load_b64 v[8:9], v[10:11], off
	s_wait_loadcnt 0x0
	v_cmp_gt_f32_e32 vcc_lo, 0, v8
	s_wait_alu 0xfffd
	v_cndmask_b32_e64 v6, v8, -v8, vcc_lo
	v_cmp_gt_f32_e32 vcc_lo, 0, v9
	s_wait_alu 0xfffd
	v_cndmask_b32_e64 v12, v9, -v9, vcc_lo
	s_delay_alu instid0(VALU_DEP_1)
	v_cmpx_ngt_f32_e32 v6, v12
	s_wait_alu 0xfffe
	s_xor_b32 s5, exec_lo, s2
	s_cbranch_execz .LBB38_33
; %bb.30:
	s_mov_b32 s6, exec_lo
	v_cmpx_neq_f32_e32 0, v9
	s_cbranch_execz .LBB38_32
; %bb.31:
	v_div_scale_f32 v7, null, v12, v12, v6
	v_div_scale_f32 v15, vcc_lo, v6, v12, v6
	s_delay_alu instid0(VALU_DEP_2) | instskip(NEXT) | instid1(TRANS32_DEP_1)
	v_rcp_f32_e32 v13, v7
	v_fma_f32 v14, -v7, v13, 1.0
	s_delay_alu instid0(VALU_DEP_1) | instskip(NEXT) | instid1(VALU_DEP_1)
	v_fmac_f32_e32 v13, v14, v13
	v_mul_f32_e32 v14, v15, v13
	s_delay_alu instid0(VALU_DEP_1) | instskip(NEXT) | instid1(VALU_DEP_1)
	v_fma_f32 v17, -v7, v14, v15
	v_fmac_f32_e32 v14, v17, v13
	s_delay_alu instid0(VALU_DEP_1) | instskip(SKIP_1) | instid1(VALU_DEP_1)
	v_fma_f32 v7, -v7, v14, v15
	s_wait_alu 0xfffd
	v_div_fmas_f32 v7, v7, v13, v14
	s_delay_alu instid0(VALU_DEP_1) | instskip(NEXT) | instid1(VALU_DEP_1)
	v_div_fixup_f32 v6, v7, v12, v6
	v_fma_f32 v6, v6, v6, 1.0
	s_delay_alu instid0(VALU_DEP_1) | instskip(SKIP_2) | instid1(VALU_DEP_2)
	v_mul_f32_e32 v7, 0x4f800000, v6
	v_cmp_gt_f32_e32 vcc_lo, 0xf800000, v6
	s_wait_alu 0xfffd
	v_cndmask_b32_e32 v6, v6, v7, vcc_lo
	s_delay_alu instid0(VALU_DEP_1) | instskip(NEXT) | instid1(TRANS32_DEP_1)
	v_sqrt_f32_e32 v7, v6
	v_add_nc_u32_e32 v13, -1, v7
	v_add_nc_u32_e32 v14, 1, v7
	s_delay_alu instid0(VALU_DEP_2) | instskip(NEXT) | instid1(VALU_DEP_2)
	v_fma_f32 v15, -v13, v7, v6
	v_fma_f32 v17, -v14, v7, v6
	s_delay_alu instid0(VALU_DEP_2) | instskip(SKIP_1) | instid1(VALU_DEP_1)
	v_cmp_ge_f32_e64 s2, 0, v15
	s_wait_alu 0xf1ff
	v_cndmask_b32_e64 v7, v7, v13, s2
	s_delay_alu instid0(VALU_DEP_3) | instskip(SKIP_1) | instid1(VALU_DEP_1)
	v_cmp_lt_f32_e64 s2, 0, v17
	s_wait_alu 0xf1ff
	v_cndmask_b32_e64 v7, v7, v14, s2
	s_delay_alu instid0(VALU_DEP_1) | instskip(NEXT) | instid1(VALU_DEP_1)
	v_mul_f32_e32 v13, 0x37800000, v7
	v_cndmask_b32_e32 v7, v7, v13, vcc_lo
	v_cmp_class_f32_e64 vcc_lo, v6, 0x260
	s_wait_alu 0xfffd
	s_delay_alu instid0(VALU_DEP_2) | instskip(NEXT) | instid1(VALU_DEP_1)
	v_cndmask_b32_e32 v6, v7, v6, vcc_lo
	v_mul_f32_e32 v7, v12, v6
.LBB38_32:
	s_wait_alu 0xfffe
	s_or_b32 exec_lo, exec_lo, s6
                                        ; implicit-def: $vgpr6
                                        ; implicit-def: $vgpr12
.LBB38_33:
	s_wait_alu 0xfffe
	s_and_not1_saveexec_b32 s5, s5
	s_cbranch_execz .LBB38_35
; %bb.34:
	v_div_scale_f32 v7, null, v6, v6, v12
	v_div_scale_f32 v15, vcc_lo, v12, v6, v12
	s_delay_alu instid0(VALU_DEP_2) | instskip(NEXT) | instid1(TRANS32_DEP_1)
	v_rcp_f32_e32 v13, v7
	v_fma_f32 v14, -v7, v13, 1.0
	s_delay_alu instid0(VALU_DEP_1) | instskip(NEXT) | instid1(VALU_DEP_1)
	v_fmac_f32_e32 v13, v14, v13
	v_mul_f32_e32 v14, v15, v13
	s_delay_alu instid0(VALU_DEP_1) | instskip(NEXT) | instid1(VALU_DEP_1)
	v_fma_f32 v17, -v7, v14, v15
	v_fmac_f32_e32 v14, v17, v13
	s_delay_alu instid0(VALU_DEP_1) | instskip(SKIP_1) | instid1(VALU_DEP_1)
	v_fma_f32 v7, -v7, v14, v15
	s_wait_alu 0xfffd
	v_div_fmas_f32 v7, v7, v13, v14
	s_delay_alu instid0(VALU_DEP_1) | instskip(NEXT) | instid1(VALU_DEP_1)
	v_div_fixup_f32 v7, v7, v6, v12
	v_fma_f32 v7, v7, v7, 1.0
	s_delay_alu instid0(VALU_DEP_1) | instskip(SKIP_2) | instid1(VALU_DEP_2)
	v_mul_f32_e32 v12, 0x4f800000, v7
	v_cmp_gt_f32_e32 vcc_lo, 0xf800000, v7
	s_wait_alu 0xfffd
	v_cndmask_b32_e32 v7, v7, v12, vcc_lo
	s_delay_alu instid0(VALU_DEP_1) | instskip(NEXT) | instid1(TRANS32_DEP_1)
	v_sqrt_f32_e32 v12, v7
	v_add_nc_u32_e32 v13, -1, v12
	v_add_nc_u32_e32 v14, 1, v12
	s_delay_alu instid0(VALU_DEP_2) | instskip(NEXT) | instid1(VALU_DEP_2)
	v_fma_f32 v15, -v13, v12, v7
	v_fma_f32 v17, -v14, v12, v7
	s_delay_alu instid0(VALU_DEP_2) | instskip(SKIP_1) | instid1(VALU_DEP_1)
	v_cmp_ge_f32_e64 s2, 0, v15
	s_wait_alu 0xf1ff
	v_cndmask_b32_e64 v12, v12, v13, s2
	s_delay_alu instid0(VALU_DEP_3) | instskip(SKIP_1) | instid1(VALU_DEP_1)
	v_cmp_lt_f32_e64 s2, 0, v17
	s_wait_alu 0xf1ff
	v_cndmask_b32_e64 v12, v12, v14, s2
	s_delay_alu instid0(VALU_DEP_1) | instskip(NEXT) | instid1(VALU_DEP_1)
	v_mul_f32_e32 v13, 0x37800000, v12
	v_cndmask_b32_e32 v12, v12, v13, vcc_lo
	v_cmp_class_f32_e64 vcc_lo, v7, 0x260
	s_wait_alu 0xfffd
	s_delay_alu instid0(VALU_DEP_2) | instskip(NEXT) | instid1(VALU_DEP_1)
	v_cndmask_b32_e32 v7, v12, v7, vcc_lo
	v_mul_f32_e32 v7, v6, v7
.LBB38_35:
	s_wait_alu 0xfffe
	s_or_b32 exec_lo, exec_lo, s5
	s_delay_alu instid0(VALU_DEP_1)
	v_cvt_f64_f32_e32 v[6:7], v7
	v_cmp_ne_u32_e32 vcc_lo, 1, v16
	v_cmp_eq_u32_e64 s2, 0, v0
	s_mov_b32 s5, -1
	s_cbranch_vccnz .LBB38_39
; %bb.36:
	v_cvt_f64_f32_e32 v[12:13], s29
	s_cmp_eq_u64 s[20:21], 8
	s_cselect_b32 vcc_lo, -1, 0
	s_wait_alu 0xfffe
	s_delay_alu instid0(VALU_DEP_1) | instskip(NEXT) | instid1(VALU_DEP_1)
	v_dual_cndmask_b32 v4, v13, v4 :: v_dual_cndmask_b32 v3, v12, v3
	v_cmp_ge_f64_e32 vcc_lo, v[3:4], v[6:7]
	s_and_b32 s6, s2, vcc_lo
	s_wait_alu 0xfffe
	s_and_saveexec_b32 s5, s6
	s_cbranch_execz .LBB38_38
; %bb.37:
	v_dual_mov_b32 v3, s3 :: v_dual_mov_b32 v4, s22
	global_store_b64 v[10:11], v[3:4], off
.LBB38_38:
	s_wait_alu 0xfffe
	s_or_b32 exec_lo, exec_lo, s5
	s_mov_b32 s5, 0
.LBB38_39:
	s_wait_alu 0xfffe
	s_and_not1_b32 vcc_lo, exec_lo, s5
	s_wait_alu 0xfffe
	s_cbranch_vccnz .LBB38_50
; %bb.40:
	s_load_b64 s[0:1], s[0:1], 0x48
	v_add_nc_u32_e32 v3, s28, v5
	s_wait_kmcnt 0x0
	v_cmp_ge_f64_e32 vcc_lo, s[0:1], v[6:7]
	s_and_b32 s1, s2, vcc_lo
	s_wait_alu 0xfffe
	s_and_saveexec_b32 s0, s1
	s_cbranch_execz .LBB38_45
; %bb.41:
	s_mov_b32 s3, exec_lo
	s_brev_b32 s1, -2
.LBB38_42:                              ; =>This Inner Loop Header: Depth=1
	s_wait_alu 0xfffe
	s_ctz_i32_b32 s5, s3
	s_wait_alu 0xfffe
	v_readlane_b32 s6, v3, s5
	s_lshl_b32 s5, 1, s5
	s_wait_alu 0xfffe
	s_and_not1_b32 s3, s3, s5
	s_min_i32 s1, s1, s6
	s_wait_alu 0xfffe
	s_cmp_lg_u32 s3, 0
	s_cbranch_scc1 .LBB38_42
; %bb.43:
	v_mbcnt_lo_u32_b32 v4, exec_lo, 0
	s_mov_b32 s3, exec_lo
	s_delay_alu instid0(VALU_DEP_1)
	v_cmpx_eq_u32_e32 0, v4
	s_wait_alu 0xfffe
	s_xor_b32 s3, exec_lo, s3
	s_cbranch_execz .LBB38_45
; %bb.44:
	v_dual_mov_b32 v4, 0 :: v_dual_mov_b32 v5, s1
	global_atomic_min_i32 v4, v5, s[18:19] scope:SCOPE_DEV
.LBB38_45:
	s_wait_alu 0xfffe
	s_or_b32 exec_lo, exec_lo, s0
	v_cmp_eq_f32_e32 vcc_lo, 0, v8
	v_cmp_eq_f32_e64 s0, 0, v9
	s_and_b32 s0, vcc_lo, s0
	s_wait_alu 0xfffe
	s_and_b32 s0, s2, s0
	s_wait_alu 0xfffe
	s_and_b32 exec_lo, exec_lo, s0
	s_cbranch_execz .LBB38_50
; %bb.46:
	s_mov_b32 s1, exec_lo
	s_brev_b32 s0, -2
.LBB38_47:                              ; =>This Inner Loop Header: Depth=1
	s_wait_alu 0xfffe
	s_ctz_i32_b32 s2, s1
	s_wait_alu 0xfffe
	v_readlane_b32 s3, v3, s2
	s_lshl_b32 s2, 1, s2
	s_wait_alu 0xfffe
	s_and_not1_b32 s1, s1, s2
	s_min_i32 s0, s0, s3
	s_wait_alu 0xfffe
	s_cmp_lg_u32 s1, 0
	s_cbranch_scc1 .LBB38_47
; %bb.48:
	v_mbcnt_lo_u32_b32 v3, exec_lo, 0
	s_mov_b32 s1, exec_lo
	s_delay_alu instid0(VALU_DEP_1)
	v_cmpx_eq_u32_e32 0, v3
	s_wait_alu 0xfffe
	s_xor_b32 s1, exec_lo, s1
	s_cbranch_execz .LBB38_50
; %bb.49:
	v_dual_mov_b32 v3, 0 :: v_dual_mov_b32 v4, s0
	global_atomic_min_i32 v3, v4, s[16:17] scope:SCOPE_DEV
.LBB38_50:
	s_wait_alu 0xfffe
	s_or_b32 exec_lo, exec_lo, s4
	v_cmp_eq_u32_e32 vcc_lo, 0, v0
	s_wait_loadcnt 0x0
	s_wait_storecnt 0x0
	global_inv scope:SCOPE_DEV
	s_and_b32 exec_lo, exec_lo, vcc_lo
	s_cbranch_execz .LBB38_52
; %bb.51:
	v_add_co_u32 v0, vcc_lo, s12, v1
	s_wait_alu 0xfffd
	v_add_co_ci_u32_e64 v1, null, s13, v2, vcc_lo
	v_mov_b32_e32 v2, 1
	s_wait_loadcnt 0x0
	global_store_b32 v[0:1], v2, off scope:SCOPE_DEV
.LBB38_52:
	s_endpgm
	.section	.rodata,"a",@progbits
	.p2align	6, 0x0
	.amdhsa_kernel _ZN9rocsparseL17csrilu0_binsearchILj256ELj64ELb0E21rocsparse_complex_numIfEEEviPKiS4_PT2_S4_PiS4_S7_S7_d21rocsparse_index_base_imNS_24const_host_device_scalarIfEENS9_IdEENS9_IS5_EEb
		.amdhsa_group_segment_fixed_size 0
		.amdhsa_private_segment_fixed_size 0
		.amdhsa_kernarg_size 124
		.amdhsa_user_sgpr_count 2
		.amdhsa_user_sgpr_dispatch_ptr 0
		.amdhsa_user_sgpr_queue_ptr 0
		.amdhsa_user_sgpr_kernarg_segment_ptr 1
		.amdhsa_user_sgpr_dispatch_id 0
		.amdhsa_user_sgpr_private_segment_size 0
		.amdhsa_wavefront_size32 1
		.amdhsa_uses_dynamic_stack 0
		.amdhsa_enable_private_segment 0
		.amdhsa_system_sgpr_workgroup_id_x 1
		.amdhsa_system_sgpr_workgroup_id_y 0
		.amdhsa_system_sgpr_workgroup_id_z 0
		.amdhsa_system_sgpr_workgroup_info 0
		.amdhsa_system_vgpr_workitem_id 0
		.amdhsa_next_free_vgpr 25
		.amdhsa_next_free_sgpr 30
		.amdhsa_reserve_vcc 1
		.amdhsa_float_round_mode_32 0
		.amdhsa_float_round_mode_16_64 0
		.amdhsa_float_denorm_mode_32 3
		.amdhsa_float_denorm_mode_16_64 3
		.amdhsa_fp16_overflow 0
		.amdhsa_workgroup_processor_mode 1
		.amdhsa_memory_ordered 1
		.amdhsa_forward_progress 1
		.amdhsa_inst_pref_size 22
		.amdhsa_round_robin_scheduling 0
		.amdhsa_exception_fp_ieee_invalid_op 0
		.amdhsa_exception_fp_denorm_src 0
		.amdhsa_exception_fp_ieee_div_zero 0
		.amdhsa_exception_fp_ieee_overflow 0
		.amdhsa_exception_fp_ieee_underflow 0
		.amdhsa_exception_fp_ieee_inexact 0
		.amdhsa_exception_int_div_zero 0
	.end_amdhsa_kernel
	.section	.text._ZN9rocsparseL17csrilu0_binsearchILj256ELj64ELb0E21rocsparse_complex_numIfEEEviPKiS4_PT2_S4_PiS4_S7_S7_d21rocsparse_index_base_imNS_24const_host_device_scalarIfEENS9_IdEENS9_IS5_EEb,"axG",@progbits,_ZN9rocsparseL17csrilu0_binsearchILj256ELj64ELb0E21rocsparse_complex_numIfEEEviPKiS4_PT2_S4_PiS4_S7_S7_d21rocsparse_index_base_imNS_24const_host_device_scalarIfEENS9_IdEENS9_IS5_EEb,comdat
.Lfunc_end38:
	.size	_ZN9rocsparseL17csrilu0_binsearchILj256ELj64ELb0E21rocsparse_complex_numIfEEEviPKiS4_PT2_S4_PiS4_S7_S7_d21rocsparse_index_base_imNS_24const_host_device_scalarIfEENS9_IdEENS9_IS5_EEb, .Lfunc_end38-_ZN9rocsparseL17csrilu0_binsearchILj256ELj64ELb0E21rocsparse_complex_numIfEEEviPKiS4_PT2_S4_PiS4_S7_S7_d21rocsparse_index_base_imNS_24const_host_device_scalarIfEENS9_IdEENS9_IS5_EEb
                                        ; -- End function
	.set _ZN9rocsparseL17csrilu0_binsearchILj256ELj64ELb0E21rocsparse_complex_numIfEEEviPKiS4_PT2_S4_PiS4_S7_S7_d21rocsparse_index_base_imNS_24const_host_device_scalarIfEENS9_IdEENS9_IS5_EEb.num_vgpr, 25
	.set _ZN9rocsparseL17csrilu0_binsearchILj256ELj64ELb0E21rocsparse_complex_numIfEEEviPKiS4_PT2_S4_PiS4_S7_S7_d21rocsparse_index_base_imNS_24const_host_device_scalarIfEENS9_IdEENS9_IS5_EEb.num_agpr, 0
	.set _ZN9rocsparseL17csrilu0_binsearchILj256ELj64ELb0E21rocsparse_complex_numIfEEEviPKiS4_PT2_S4_PiS4_S7_S7_d21rocsparse_index_base_imNS_24const_host_device_scalarIfEENS9_IdEENS9_IS5_EEb.numbered_sgpr, 30
	.set _ZN9rocsparseL17csrilu0_binsearchILj256ELj64ELb0E21rocsparse_complex_numIfEEEviPKiS4_PT2_S4_PiS4_S7_S7_d21rocsparse_index_base_imNS_24const_host_device_scalarIfEENS9_IdEENS9_IS5_EEb.num_named_barrier, 0
	.set _ZN9rocsparseL17csrilu0_binsearchILj256ELj64ELb0E21rocsparse_complex_numIfEEEviPKiS4_PT2_S4_PiS4_S7_S7_d21rocsparse_index_base_imNS_24const_host_device_scalarIfEENS9_IdEENS9_IS5_EEb.private_seg_size, 0
	.set _ZN9rocsparseL17csrilu0_binsearchILj256ELj64ELb0E21rocsparse_complex_numIfEEEviPKiS4_PT2_S4_PiS4_S7_S7_d21rocsparse_index_base_imNS_24const_host_device_scalarIfEENS9_IdEENS9_IS5_EEb.uses_vcc, 1
	.set _ZN9rocsparseL17csrilu0_binsearchILj256ELj64ELb0E21rocsparse_complex_numIfEEEviPKiS4_PT2_S4_PiS4_S7_S7_d21rocsparse_index_base_imNS_24const_host_device_scalarIfEENS9_IdEENS9_IS5_EEb.uses_flat_scratch, 0
	.set _ZN9rocsparseL17csrilu0_binsearchILj256ELj64ELb0E21rocsparse_complex_numIfEEEviPKiS4_PT2_S4_PiS4_S7_S7_d21rocsparse_index_base_imNS_24const_host_device_scalarIfEENS9_IdEENS9_IS5_EEb.has_dyn_sized_stack, 0
	.set _ZN9rocsparseL17csrilu0_binsearchILj256ELj64ELb0E21rocsparse_complex_numIfEEEviPKiS4_PT2_S4_PiS4_S7_S7_d21rocsparse_index_base_imNS_24const_host_device_scalarIfEENS9_IdEENS9_IS5_EEb.has_recursion, 0
	.set _ZN9rocsparseL17csrilu0_binsearchILj256ELj64ELb0E21rocsparse_complex_numIfEEEviPKiS4_PT2_S4_PiS4_S7_S7_d21rocsparse_index_base_imNS_24const_host_device_scalarIfEENS9_IdEENS9_IS5_EEb.has_indirect_call, 0
	.section	.AMDGPU.csdata,"",@progbits
; Kernel info:
; codeLenInByte = 2752
; TotalNumSgprs: 32
; NumVgprs: 25
; ScratchSize: 0
; MemoryBound: 0
; FloatMode: 240
; IeeeMode: 1
; LDSByteSize: 0 bytes/workgroup (compile time only)
; SGPRBlocks: 0
; VGPRBlocks: 3
; NumSGPRsForWavesPerEU: 32
; NumVGPRsForWavesPerEU: 25
; Occupancy: 16
; WaveLimiterHint : 1
; COMPUTE_PGM_RSRC2:SCRATCH_EN: 0
; COMPUTE_PGM_RSRC2:USER_SGPR: 2
; COMPUTE_PGM_RSRC2:TRAP_HANDLER: 0
; COMPUTE_PGM_RSRC2:TGID_X_EN: 1
; COMPUTE_PGM_RSRC2:TGID_Y_EN: 0
; COMPUTE_PGM_RSRC2:TGID_Z_EN: 0
; COMPUTE_PGM_RSRC2:TIDIG_COMP_CNT: 0
	.section	.text._ZN9rocsparseL17csrilu0_binsearchILj256ELj64ELb1E21rocsparse_complex_numIdEEEviPKiS4_PT2_S4_PiS4_S7_S7_d21rocsparse_index_base_imNS_24const_host_device_scalarIfEENS9_IdEENS9_IS5_EEb,"axG",@progbits,_ZN9rocsparseL17csrilu0_binsearchILj256ELj64ELb1E21rocsparse_complex_numIdEEEviPKiS4_PT2_S4_PiS4_S7_S7_d21rocsparse_index_base_imNS_24const_host_device_scalarIfEENS9_IdEENS9_IS5_EEb,comdat
	.globl	_ZN9rocsparseL17csrilu0_binsearchILj256ELj64ELb1E21rocsparse_complex_numIdEEEviPKiS4_PT2_S4_PiS4_S7_S7_d21rocsparse_index_base_imNS_24const_host_device_scalarIfEENS9_IdEENS9_IS5_EEb ; -- Begin function _ZN9rocsparseL17csrilu0_binsearchILj256ELj64ELb1E21rocsparse_complex_numIdEEEviPKiS4_PT2_S4_PiS4_S7_S7_d21rocsparse_index_base_imNS_24const_host_device_scalarIfEENS9_IdEENS9_IS5_EEb
	.p2align	8
	.type	_ZN9rocsparseL17csrilu0_binsearchILj256ELj64ELb1E21rocsparse_complex_numIdEEEviPKiS4_PT2_S4_PiS4_S7_S7_d21rocsparse_index_base_imNS_24const_host_device_scalarIfEENS9_IdEENS9_IS5_EEb,@function
_ZN9rocsparseL17csrilu0_binsearchILj256ELj64ELb1E21rocsparse_complex_numIdEEEviPKiS4_PT2_S4_PiS4_S7_S7_d21rocsparse_index_base_imNS_24const_host_device_scalarIfEENS9_IdEENS9_IS5_EEb: ; @_ZN9rocsparseL17csrilu0_binsearchILj256ELj64ELb1E21rocsparse_complex_numIdEEEviPKiS4_PT2_S4_PiS4_S7_S7_d21rocsparse_index_base_imNS_24const_host_device_scalarIfEENS9_IdEENS9_IS5_EEb
; %bb.0:
	s_clause 0x2
	s_load_b96 s[4:6], s[0:1], 0x78
	s_load_b64 s[28:29], s[0:1], 0x50
	s_load_b256 s[20:27], s[0:1], 0x58
	s_wait_kmcnt 0x0
	s_bitcmp1_b32 s6, 0
	s_cselect_b32 s6, -1, 0
	s_cmp_eq_u32 s29, 0
	v_dual_mov_b32 v1, s26 :: v_dual_mov_b32 v2, s27
	s_cselect_b32 s2, -1, 0
	s_cmp_lg_u32 s29, 0
	s_cselect_b32 s7, -1, 0
	s_or_b32 s9, s2, s6
	scratch_store_b64 off, v[1:2], off
	s_xor_b32 s8, s9, -1
	s_and_b32 s2, s2, exec_lo
	s_cselect_b32 s3, 0, s25
	s_cselect_b32 s2, 0, s24
	;; [unrolled: 1-line block ×3, first 2 shown]
	s_and_b32 vcc_lo, exec_lo, s9
	s_cbranch_vccnz .LBB39_2
; %bb.1:
	s_load_b32 s29, s[22:23], 0x0
	s_mov_b64 s[2:3], s[24:25]
.LBB39_2:
	s_delay_alu instid0(SALU_CYCLE_1)
	v_dual_mov_b32 v16, s3 :: v_dual_mov_b32 v15, s2
	s_and_not1_b32 vcc_lo, exec_lo, s8
	s_cbranch_vccnz .LBB39_4
; %bb.3:
	v_dual_mov_b32 v1, s24 :: v_dual_mov_b32 v2, s25
	flat_load_b64 v[15:16], v[1:2]
.LBB39_4:
	v_mov_b32_e32 v1, 0
	v_dual_mov_b32 v2, 0 :: v_dual_mov_b32 v3, 0
	v_cndmask_b32_e64 v24, 0, 1, s7
	v_mov_b32_e32 v4, 0
	s_and_not1_b32 vcc_lo, exec_lo, s7
	s_cbranch_vccnz .LBB39_7
; %bb.5:
	s_mov_b64 s[2:3], src_private_base
	s_xor_b32 s2, s6, -1
	s_and_b32 s6, s6, exec_lo
	s_cselect_b32 s6, 0, s26
	s_wait_alu 0xfffe
	s_cselect_b32 s3, s3, s27
	s_wait_alu 0xfffe
	v_dual_mov_b32 v1, s6 :: v_dual_mov_b32 v2, s3
	v_dual_mov_b32 v3, s4 :: v_dual_mov_b32 v4, s5
	s_and_not1_b32 vcc_lo, exec_lo, s2
	flat_load_b64 v[1:2], v[1:2]
	s_cbranch_vccnz .LBB39_7
; %bb.6:
	v_dual_mov_b32 v3, s26 :: v_dual_mov_b32 v4, s27
	flat_load_b64 v[3:4], v[3:4] offset:8
.LBB39_7:
	s_load_b32 s2, s[0:1], 0x0
	v_lshrrev_b32_e32 v5, 6, v0
	s_lshl_b32 s3, ttmp9, 2
	s_wait_alu 0xfffe
	s_delay_alu instid0(VALU_DEP_1) | instskip(SKIP_1) | instid1(VALU_DEP_1)
	v_and_or_b32 v5, 0x3fffffc, s3, v5
	s_wait_kmcnt 0x0
	v_cmp_gt_i32_e32 vcc_lo, s2, v5
	s_and_saveexec_b32 s2, vcc_lo
	s_cbranch_execz .LBB39_51
; %bb.8:
	s_load_b512 s[4:19], s[0:1], 0x8
	v_lshlrev_b32_e32 v5, 2, v5
	v_and_b32_e32 v0, 63, v0
	s_mov_b32 s3, exec_lo
	s_wait_kmcnt 0x0
	global_load_b32 v17, v5, s[14:15]
	s_wait_loadcnt 0x0
	v_ashrrev_i32_e32 v18, 31, v17
	s_delay_alu instid0(VALU_DEP_1) | instskip(NEXT) | instid1(VALU_DEP_1)
	v_lshlrev_b64_e32 v[13:14], 2, v[17:18]
	v_add_co_u32 v5, vcc_lo, s4, v13
	s_delay_alu instid0(VALU_DEP_1)
	v_add_co_ci_u32_e64 v6, null, s5, v14, vcc_lo
	v_add_co_u32 v7, vcc_lo, s10, v13
	s_wait_alu 0xfffd
	v_add_co_ci_u32_e64 v8, null, s11, v14, vcc_lo
	global_load_b32 v9, v[5:6], off
	global_load_b32 v18, v[7:8], off
	s_wait_loadcnt 0x1
	v_subrev_nc_u32_e32 v19, s28, v9
	s_wait_loadcnt 0x0
	s_delay_alu instid0(VALU_DEP_1)
	v_cmpx_lt_i32_e64 v19, v18
	s_cbranch_execz .LBB39_27
; %bb.9:
	global_load_b32 v5, v[5:6], off offset:4
	v_add_nc_u32_e32 v25, 1, v0
	s_mov_b32 s14, 0
	s_wait_loadcnt 0x0
	v_xad_u32 v26, s28, -1, v5
	s_branch .LBB39_12
.LBB39_10:                              ;   in Loop: Header=BB39_12 Depth=1
	s_or_b32 exec_lo, exec_lo, s15
	v_cmp_ge_i32_e32 vcc_lo, v19, v18
	s_or_not1_b32 s15, vcc_lo, exec_lo
.LBB39_11:                              ;   in Loop: Header=BB39_12 Depth=1
	s_wait_alu 0xfffe
	s_or_b32 exec_lo, exec_lo, s2
	s_delay_alu instid0(SALU_CYCLE_1) | instskip(SKIP_2) | instid1(SALU_CYCLE_1)
	s_and_b32 s2, exec_lo, s15
	s_wait_alu 0xfffe
	s_or_b32 s14, s2, s14
	s_and_not1_b32 exec_lo, exec_lo, s14
	s_cbranch_execz .LBB39_27
.LBB39_12:                              ; =>This Loop Header: Depth=1
                                        ;     Child Loop BB39_15 Depth 2
                                        ;       Child Loop BB39_16 Depth 3
                                        ;     Child Loop BB39_21 Depth 2
                                        ;       Child Loop BB39_23 Depth 3
	v_ashrrev_i32_e32 v20, 31, v19
	s_mov_b32 s2, exec_lo
	s_delay_alu instid0(VALU_DEP_1) | instskip(SKIP_1) | instid1(VALU_DEP_2)
	v_lshlrev_b64_e32 v[5:6], 2, v[19:20]
	v_lshlrev_b64_e32 v[7:8], 4, v[19:20]
	v_add_co_u32 v5, vcc_lo, s6, v5
	s_wait_alu 0xfffd
	s_delay_alu instid0(VALU_DEP_3) | instskip(NEXT) | instid1(VALU_DEP_3)
	v_add_co_ci_u32_e64 v6, null, s7, v6, vcc_lo
	v_add_co_u32 v20, vcc_lo, s8, v7
	s_wait_alu 0xfffd
	v_add_co_ci_u32_e64 v21, null, s9, v8, vcc_lo
	global_load_b32 v5, v[5:6], off
	s_wait_loadcnt 0x0
	v_subrev_nc_u32_e32 v5, s28, v5
	s_delay_alu instid0(VALU_DEP_1) | instskip(NEXT) | instid1(VALU_DEP_1)
	v_ashrrev_i32_e32 v6, 31, v5
	v_lshlrev_b64_e32 v[5:6], 2, v[5:6]
	s_delay_alu instid0(VALU_DEP_1) | instskip(SKIP_1) | instid1(VALU_DEP_2)
	v_add_co_u32 v11, vcc_lo, s4, v5
	s_wait_alu 0xfffd
	v_add_co_ci_u32_e64 v12, null, s5, v6, vcc_lo
	v_add_co_u32 v22, vcc_lo, s10, v5
	s_wait_alu 0xfffd
	v_add_co_ci_u32_e64 v23, null, s11, v6, vcc_lo
	;; [unrolled: 3-line block ×3, first 2 shown]
	global_load_b128 v[5:8], v[20:21], off
	global_load_b32 v12, v[11:12], off offset:4
	global_load_b32 v11, v[22:23], off
	global_load_b32 v22, v[9:10], off scope:SCOPE_DEV
	s_wait_loadcnt 0x0
	v_cmpx_eq_u32_e32 0, v22
	s_cbranch_execz .LBB39_17
; %bb.13:                               ;   in Loop: Header=BB39_12 Depth=1
	s_mov_b32 s15, 0
	s_mov_b32 s22, 0
	s_branch .LBB39_15
.LBB39_14:                              ;   in Loop: Header=BB39_15 Depth=2
	global_load_b32 v22, v[9:10], off scope:SCOPE_DEV
	s_cmp_lt_u32 s22, 0xf43
	s_cselect_b32 s23, -1, 0
	s_delay_alu instid0(SALU_CYCLE_1) | instskip(SKIP_4) | instid1(SALU_CYCLE_1)
	s_cmp_lg_u32 s23, 0
	s_add_co_ci_u32 s22, s22, 0
	s_wait_loadcnt 0x0
	v_cmp_ne_u32_e32 vcc_lo, 0, v22
	s_or_b32 s15, vcc_lo, s15
	s_and_not1_b32 exec_lo, exec_lo, s15
	s_cbranch_execz .LBB39_17
.LBB39_15:                              ;   Parent Loop BB39_12 Depth=1
                                        ; =>  This Loop Header: Depth=2
                                        ;       Child Loop BB39_16 Depth 3
	s_cmp_eq_u32 s22, 0
	s_mov_b32 s23, s22
	s_cbranch_scc1 .LBB39_14
.LBB39_16:                              ;   Parent Loop BB39_12 Depth=1
                                        ;     Parent Loop BB39_15 Depth=2
                                        ; =>    This Inner Loop Header: Depth=3
	s_add_co_i32 s23, s23, -1
	s_sleep 1
	s_cmp_eq_u32 s23, 0
	s_cbranch_scc0 .LBB39_16
	s_branch .LBB39_14
.LBB39_17:                              ;   in Loop: Header=BB39_12 Depth=1
	s_wait_alu 0xfffe
	s_or_b32 exec_lo, exec_lo, s2
	v_subrev_nc_u32_e32 v27, s28, v12
	v_cmp_eq_u32_e32 vcc_lo, -1, v11
	s_wait_storecnt_dscnt 0x0
	global_inv scope:SCOPE_DEV
	s_mov_b32 s15, -1
	v_add_nc_u32_e32 v9, -1, v27
	s_wait_alu 0xfffd
	s_delay_alu instid0(VALU_DEP_1) | instskip(NEXT) | instid1(VALU_DEP_1)
	v_cndmask_b32_e32 v22, v11, v9, vcc_lo
	v_ashrrev_i32_e32 v23, 31, v22
	s_delay_alu instid0(VALU_DEP_1) | instskip(NEXT) | instid1(VALU_DEP_1)
	v_lshlrev_b64_e32 v[9:10], 4, v[22:23]
	v_add_co_u32 v9, vcc_lo, s8, v9
	s_wait_alu 0xfffd
	s_delay_alu instid0(VALU_DEP_2)
	v_add_co_ci_u32_e64 v10, null, s9, v10, vcc_lo
	global_load_b128 v[9:12], v[9:10], off
	s_wait_loadcnt 0x0
	v_cmp_neq_f64_e32 vcc_lo, 0, v[9:10]
	v_cmp_neq_f64_e64 s2, 0, v[11:12]
	s_or_b32 s2, vcc_lo, s2
	s_wait_alu 0xfffe
	s_and_saveexec_b32 s22, s2
	s_delay_alu instid0(SALU_CYCLE_1)
	s_xor_b32 s2, exec_lo, s22
	s_cbranch_execz .LBB39_11
; %bb.18:                               ;   in Loop: Header=BB39_12 Depth=1
	v_mul_f64_e32 v[28:29], v[11:12], v[11:12]
	v_add_nc_u32_e32 v19, 1, v19
	s_mov_b32 s15, exec_lo
	s_delay_alu instid0(VALU_DEP_2) | instskip(NEXT) | instid1(VALU_DEP_1)
	v_fma_f64 v[28:29], v[9:10], v[9:10], v[28:29]
	v_div_scale_f64 v[30:31], null, v[28:29], v[28:29], 1.0
	v_div_scale_f64 v[36:37], vcc_lo, 1.0, v[28:29], 1.0
	s_delay_alu instid0(VALU_DEP_2) | instskip(NEXT) | instid1(TRANS32_DEP_1)
	v_rcp_f64_e32 v[32:33], v[30:31]
	v_fma_f64 v[34:35], -v[30:31], v[32:33], 1.0
	s_delay_alu instid0(VALU_DEP_1) | instskip(NEXT) | instid1(VALU_DEP_1)
	v_fma_f64 v[32:33], v[32:33], v[34:35], v[32:33]
	v_fma_f64 v[34:35], -v[30:31], v[32:33], 1.0
	s_delay_alu instid0(VALU_DEP_1) | instskip(NEXT) | instid1(VALU_DEP_1)
	v_fma_f64 v[32:33], v[32:33], v[34:35], v[32:33]
	v_mul_f64_e32 v[34:35], v[36:37], v[32:33]
	s_delay_alu instid0(VALU_DEP_1) | instskip(SKIP_3) | instid1(VALU_DEP_3)
	v_fma_f64 v[30:31], -v[30:31], v[34:35], v[36:37]
	v_mul_f64_e32 v[36:37], v[7:8], v[11:12]
	v_mul_f64_e64 v[11:12], v[11:12], -v[5:6]
	s_wait_alu 0xfffd
	v_div_fmas_f64 v[30:31], v[30:31], v[32:33], v[34:35]
	s_delay_alu instid0(VALU_DEP_3) | instskip(NEXT) | instid1(VALU_DEP_3)
	v_fma_f64 v[5:6], v[5:6], v[9:10], v[36:37]
	v_fma_f64 v[7:8], v[7:8], v[9:10], v[11:12]
	v_add_nc_u32_e32 v9, v25, v22
	s_delay_alu instid0(VALU_DEP_4) | instskip(NEXT) | instid1(VALU_DEP_1)
	v_div_fixup_f64 v[28:29], v[30:31], v[28:29], 1.0
	v_mul_f64_e32 v[5:6], v[5:6], v[28:29]
	s_delay_alu instid0(VALU_DEP_4)
	v_mul_f64_e32 v[7:8], v[7:8], v[28:29]
	global_store_b128 v[20:21], v[5:8], off
	v_cmpx_lt_i32_e64 v9, v27
	s_cbranch_execz .LBB39_10
; %bb.19:                               ;   in Loop: Header=BB39_12 Depth=1
	v_mov_b32_e32 v11, v19
	s_mov_b32 s22, 0
	s_branch .LBB39_21
.LBB39_20:                              ;   in Loop: Header=BB39_21 Depth=2
	s_or_b32 exec_lo, exec_lo, s23
	v_add_nc_u32_e32 v9, 64, v9
	s_delay_alu instid0(VALU_DEP_1) | instskip(SKIP_1) | instid1(SALU_CYCLE_1)
	v_cmp_ge_i32_e32 vcc_lo, v9, v27
	s_or_b32 s22, vcc_lo, s22
	s_and_not1_b32 exec_lo, exec_lo, s22
	s_cbranch_execz .LBB39_10
.LBB39_21:                              ;   Parent Loop BB39_12 Depth=1
                                        ; =>  This Loop Header: Depth=2
                                        ;       Child Loop BB39_23 Depth 3
	s_delay_alu instid0(VALU_DEP_1) | instskip(SKIP_1) | instid1(VALU_DEP_1)
	v_add_nc_u32_e32 v10, v11, v26
	s_mov_b32 s23, exec_lo
	v_ashrrev_i32_e32 v20, 1, v10
	v_ashrrev_i32_e32 v10, 31, v9
	s_delay_alu instid0(VALU_DEP_2) | instskip(NEXT) | instid1(VALU_DEP_2)
	v_ashrrev_i32_e32 v21, 31, v20
	v_lshlrev_b64_e32 v[22:23], 2, v[9:10]
	s_delay_alu instid0(VALU_DEP_2) | instskip(NEXT) | instid1(VALU_DEP_2)
	v_lshlrev_b64_e32 v[28:29], 2, v[20:21]
	v_add_co_u32 v21, vcc_lo, s6, v22
	s_wait_alu 0xfffd
	s_delay_alu instid0(VALU_DEP_3) | instskip(NEXT) | instid1(VALU_DEP_3)
	v_add_co_ci_u32_e64 v22, null, s7, v23, vcc_lo
	v_add_co_u32 v28, vcc_lo, s6, v28
	s_wait_alu 0xfffd
	v_add_co_ci_u32_e64 v29, null, s7, v29, vcc_lo
	s_clause 0x1
	global_load_b32 v12, v[21:22], off
	global_load_b32 v21, v[28:29], off
	v_cmpx_lt_i32_e64 v11, v26
	s_cbranch_execz .LBB39_25
; %bb.22:                               ;   in Loop: Header=BB39_21 Depth=2
	v_mov_b32_e32 v22, v26
	s_mov_b32 s24, 0
.LBB39_23:                              ;   Parent Loop BB39_12 Depth=1
                                        ;     Parent Loop BB39_21 Depth=2
                                        ; =>    This Inner Loop Header: Depth=3
	s_wait_loadcnt 0x0
	v_cmp_lt_i32_e32 vcc_lo, v21, v12
	s_wait_alu 0xfffd
	v_dual_cndmask_b32 v22, v20, v22 :: v_dual_add_nc_u32 v23, 1, v20
	s_delay_alu instid0(VALU_DEP_1) | instskip(NEXT) | instid1(VALU_DEP_1)
	v_cndmask_b32_e32 v11, v11, v23, vcc_lo
	v_add_nc_u32_e32 v20, v22, v11
	s_delay_alu instid0(VALU_DEP_1) | instskip(NEXT) | instid1(VALU_DEP_1)
	v_ashrrev_i32_e32 v20, 1, v20
	v_ashrrev_i32_e32 v21, 31, v20
	s_delay_alu instid0(VALU_DEP_1) | instskip(NEXT) | instid1(VALU_DEP_1)
	v_lshlrev_b64_e32 v[28:29], 2, v[20:21]
	v_add_co_u32 v28, vcc_lo, s6, v28
	s_wait_alu 0xfffd
	s_delay_alu instid0(VALU_DEP_2)
	v_add_co_ci_u32_e64 v29, null, s7, v29, vcc_lo
	v_cmp_ge_i32_e32 vcc_lo, v11, v22
	global_load_b32 v21, v[28:29], off
	s_wait_alu 0xfffe
	s_or_b32 s24, vcc_lo, s24
	s_wait_alu 0xfffe
	s_and_not1_b32 exec_lo, exec_lo, s24
	s_cbranch_execnz .LBB39_23
; %bb.24:                               ;   in Loop: Header=BB39_21 Depth=2
	s_or_b32 exec_lo, exec_lo, s24
.LBB39_25:                              ;   in Loop: Header=BB39_21 Depth=2
	s_delay_alu instid0(SALU_CYCLE_1) | instskip(NEXT) | instid1(SALU_CYCLE_1)
	s_or_b32 exec_lo, exec_lo, s23
	s_mov_b32 s23, exec_lo
	s_wait_loadcnt 0x0
	v_cmpx_eq_u32_e64 v21, v12
	s_cbranch_execz .LBB39_20
; %bb.26:                               ;   in Loop: Header=BB39_21 Depth=2
	v_ashrrev_i32_e32 v12, 31, v11
	v_lshlrev_b64_e32 v[20:21], 4, v[9:10]
	s_delay_alu instid0(VALU_DEP_2) | instskip(NEXT) | instid1(VALU_DEP_2)
	v_lshlrev_b64_e32 v[22:23], 4, v[11:12]
	v_add_co_u32 v20, vcc_lo, s8, v20
	s_wait_alu 0xfffd
	s_delay_alu instid0(VALU_DEP_3) | instskip(NEXT) | instid1(VALU_DEP_3)
	v_add_co_ci_u32_e64 v21, null, s9, v21, vcc_lo
	v_add_co_u32 v32, vcc_lo, s8, v22
	s_wait_alu 0xfffd
	v_add_co_ci_u32_e64 v33, null, s9, v23, vcc_lo
	s_clause 0x1
	global_load_b128 v[20:23], v[20:21], off
	global_load_b128 v[28:31], v[32:33], off
	s_wait_loadcnt 0x0
	v_fma_f64 v[28:29], -v[5:6], v[20:21], v[28:29]
	v_fma_f64 v[30:31], -v[7:8], v[20:21], v[30:31]
	s_delay_alu instid0(VALU_DEP_2) | instskip(NEXT) | instid1(VALU_DEP_2)
	v_fma_f64 v[20:21], v[7:8], v[22:23], v[28:29]
	v_fma_f64 v[22:23], -v[5:6], v[22:23], v[30:31]
	global_store_b128 v[32:33], v[20:23], off
	s_branch .LBB39_20
.LBB39_27:
	s_wait_alu 0xfffe
	s_or_b32 exec_lo, exec_lo, s3
	s_delay_alu instid0(SALU_CYCLE_1)
	s_mov_b32 s3, exec_lo
	s_wait_storecnt_dscnt 0x0
	global_inv scope:SCOPE_SE
	v_cmpx_lt_i32_e32 -1, v18
	s_cbranch_execz .LBB39_49
; %bb.28:
	v_mov_b32_e32 v19, 0
	s_mov_b32 s2, exec_lo
	s_delay_alu instid0(VALU_DEP_1) | instskip(NEXT) | instid1(VALU_DEP_1)
	v_lshlrev_b64_e32 v[5:6], 4, v[18:19]
	v_add_co_u32 v9, vcc_lo, s8, v5
	s_wait_alu 0xfffd
	s_delay_alu instid0(VALU_DEP_2)
	v_add_co_ci_u32_e64 v10, null, s9, v6, vcc_lo
	global_load_b128 v[5:8], v[9:10], off
	s_wait_loadcnt 0x0
	v_cmp_gt_f64_e32 vcc_lo, 0, v[5:6]
	v_xor_b32_e32 v12, 0x80000000, v6
	v_xor_b32_e32 v18, 0x80000000, v8
	v_dual_mov_b32 v11, v5 :: v_dual_mov_b32 v20, v7
	s_wait_alu 0xfffd
	s_delay_alu instid0(VALU_DEP_3) | instskip(SKIP_3) | instid1(VALU_DEP_1)
	v_cndmask_b32_e32 v12, v6, v12, vcc_lo
	v_cmp_gt_f64_e32 vcc_lo, 0, v[7:8]
	s_wait_alu 0xfffd
	v_cndmask_b32_e32 v21, v8, v18, vcc_lo
                                        ; implicit-def: $vgpr18_vgpr19
	v_cmpx_ngt_f64_e32 v[11:12], v[20:21]
	s_wait_alu 0xfffe
	s_xor_b32 s2, exec_lo, s2
	s_cbranch_execz .LBB39_32
; %bb.29:
	v_mov_b32_e32 v18, 0
	v_mov_b32_e32 v19, 0
	s_mov_b32 s4, exec_lo
	v_cmpx_neq_f64_e32 0, v[7:8]
	s_cbranch_execz .LBB39_31
; %bb.30:
	v_div_scale_f64 v[18:19], null, v[20:21], v[20:21], v[11:12]
	v_div_scale_f64 v[27:28], vcc_lo, v[11:12], v[20:21], v[11:12]
	s_delay_alu instid0(VALU_DEP_2) | instskip(NEXT) | instid1(TRANS32_DEP_1)
	v_rcp_f64_e32 v[22:23], v[18:19]
	v_fma_f64 v[25:26], -v[18:19], v[22:23], 1.0
	s_delay_alu instid0(VALU_DEP_1) | instskip(NEXT) | instid1(VALU_DEP_1)
	v_fma_f64 v[22:23], v[22:23], v[25:26], v[22:23]
	v_fma_f64 v[25:26], -v[18:19], v[22:23], 1.0
	s_delay_alu instid0(VALU_DEP_1) | instskip(NEXT) | instid1(VALU_DEP_1)
	v_fma_f64 v[22:23], v[22:23], v[25:26], v[22:23]
	v_mul_f64_e32 v[25:26], v[27:28], v[22:23]
	s_delay_alu instid0(VALU_DEP_1) | instskip(SKIP_1) | instid1(VALU_DEP_1)
	v_fma_f64 v[18:19], -v[18:19], v[25:26], v[27:28]
	s_wait_alu 0xfffd
	v_div_fmas_f64 v[18:19], v[18:19], v[22:23], v[25:26]
	s_delay_alu instid0(VALU_DEP_1) | instskip(NEXT) | instid1(VALU_DEP_1)
	v_div_fixup_f64 v[11:12], v[18:19], v[20:21], v[11:12]
	v_fma_f64 v[11:12], v[11:12], v[11:12], 1.0
	s_delay_alu instid0(VALU_DEP_1) | instskip(SKIP_2) | instid1(VALU_DEP_1)
	v_cmp_gt_f64_e32 vcc_lo, 0x10000000, v[11:12]
	s_wait_alu 0xfffd
	v_cndmask_b32_e64 v18, 0, 0x100, vcc_lo
	v_ldexp_f64 v[11:12], v[11:12], v18
	s_delay_alu instid0(VALU_DEP_1) | instskip(NEXT) | instid1(TRANS32_DEP_1)
	v_rsq_f64_e32 v[18:19], v[11:12]
	v_mul_f64_e32 v[22:23], v[11:12], v[18:19]
	v_mul_f64_e32 v[18:19], 0.5, v[18:19]
	s_delay_alu instid0(VALU_DEP_1) | instskip(NEXT) | instid1(VALU_DEP_1)
	v_fma_f64 v[25:26], -v[18:19], v[22:23], 0.5
	v_fma_f64 v[22:23], v[22:23], v[25:26], v[22:23]
	v_fma_f64 v[18:19], v[18:19], v[25:26], v[18:19]
	s_delay_alu instid0(VALU_DEP_2) | instskip(NEXT) | instid1(VALU_DEP_1)
	v_fma_f64 v[25:26], -v[22:23], v[22:23], v[11:12]
	v_fma_f64 v[22:23], v[25:26], v[18:19], v[22:23]
	s_delay_alu instid0(VALU_DEP_1) | instskip(NEXT) | instid1(VALU_DEP_1)
	v_fma_f64 v[25:26], -v[22:23], v[22:23], v[11:12]
	v_fma_f64 v[18:19], v[25:26], v[18:19], v[22:23]
	v_cndmask_b32_e64 v22, 0, 0xffffff80, vcc_lo
	v_cmp_class_f64_e64 vcc_lo, v[11:12], 0x260
	s_delay_alu instid0(VALU_DEP_2) | instskip(SKIP_1) | instid1(VALU_DEP_1)
	v_ldexp_f64 v[18:19], v[18:19], v22
	s_wait_alu 0xfffd
	v_dual_cndmask_b32 v12, v19, v12 :: v_dual_cndmask_b32 v11, v18, v11
	s_delay_alu instid0(VALU_DEP_1)
	v_mul_f64_e32 v[18:19], v[20:21], v[11:12]
.LBB39_31:
	s_wait_alu 0xfffe
	s_or_b32 exec_lo, exec_lo, s4
                                        ; implicit-def: $vgpr11_vgpr12
                                        ; implicit-def: $vgpr20_vgpr21
.LBB39_32:
	s_wait_alu 0xfffe
	s_and_not1_saveexec_b32 s2, s2
	s_cbranch_execz .LBB39_34
; %bb.33:
	v_div_scale_f64 v[18:19], null, v[11:12], v[11:12], v[20:21]
	v_div_scale_f64 v[27:28], vcc_lo, v[20:21], v[11:12], v[20:21]
	s_delay_alu instid0(VALU_DEP_2) | instskip(NEXT) | instid1(TRANS32_DEP_1)
	v_rcp_f64_e32 v[22:23], v[18:19]
	v_fma_f64 v[25:26], -v[18:19], v[22:23], 1.0
	s_delay_alu instid0(VALU_DEP_1) | instskip(NEXT) | instid1(VALU_DEP_1)
	v_fma_f64 v[22:23], v[22:23], v[25:26], v[22:23]
	v_fma_f64 v[25:26], -v[18:19], v[22:23], 1.0
	s_delay_alu instid0(VALU_DEP_1) | instskip(NEXT) | instid1(VALU_DEP_1)
	v_fma_f64 v[22:23], v[22:23], v[25:26], v[22:23]
	v_mul_f64_e32 v[25:26], v[27:28], v[22:23]
	s_delay_alu instid0(VALU_DEP_1) | instskip(SKIP_1) | instid1(VALU_DEP_1)
	v_fma_f64 v[18:19], -v[18:19], v[25:26], v[27:28]
	s_wait_alu 0xfffd
	v_div_fmas_f64 v[18:19], v[18:19], v[22:23], v[25:26]
	s_delay_alu instid0(VALU_DEP_1) | instskip(NEXT) | instid1(VALU_DEP_1)
	v_div_fixup_f64 v[18:19], v[18:19], v[11:12], v[20:21]
	v_fma_f64 v[18:19], v[18:19], v[18:19], 1.0
	s_delay_alu instid0(VALU_DEP_1) | instskip(SKIP_2) | instid1(VALU_DEP_1)
	v_cmp_gt_f64_e32 vcc_lo, 0x10000000, v[18:19]
	s_wait_alu 0xfffd
	v_cndmask_b32_e64 v20, 0, 0x100, vcc_lo
	v_ldexp_f64 v[18:19], v[18:19], v20
	s_delay_alu instid0(VALU_DEP_1) | instskip(NEXT) | instid1(TRANS32_DEP_1)
	v_rsq_f64_e32 v[20:21], v[18:19]
	v_mul_f64_e32 v[22:23], v[18:19], v[20:21]
	v_mul_f64_e32 v[20:21], 0.5, v[20:21]
	s_delay_alu instid0(VALU_DEP_1) | instskip(NEXT) | instid1(VALU_DEP_1)
	v_fma_f64 v[25:26], -v[20:21], v[22:23], 0.5
	v_fma_f64 v[22:23], v[22:23], v[25:26], v[22:23]
	v_fma_f64 v[20:21], v[20:21], v[25:26], v[20:21]
	s_delay_alu instid0(VALU_DEP_2) | instskip(NEXT) | instid1(VALU_DEP_1)
	v_fma_f64 v[25:26], -v[22:23], v[22:23], v[18:19]
	v_fma_f64 v[22:23], v[25:26], v[20:21], v[22:23]
	s_delay_alu instid0(VALU_DEP_1) | instskip(NEXT) | instid1(VALU_DEP_1)
	v_fma_f64 v[25:26], -v[22:23], v[22:23], v[18:19]
	v_fma_f64 v[20:21], v[25:26], v[20:21], v[22:23]
	v_cndmask_b32_e64 v22, 0, 0xffffff80, vcc_lo
	v_cmp_class_f64_e64 vcc_lo, v[18:19], 0x260
	s_delay_alu instid0(VALU_DEP_2) | instskip(SKIP_1) | instid1(VALU_DEP_1)
	v_ldexp_f64 v[20:21], v[20:21], v22
	s_wait_alu 0xfffd
	v_dual_cndmask_b32 v19, v21, v19 :: v_dual_cndmask_b32 v18, v20, v18
	s_delay_alu instid0(VALU_DEP_1)
	v_mul_f64_e32 v[18:19], v[11:12], v[18:19]
.LBB39_34:
	s_wait_alu 0xfffe
	s_or_b32 exec_lo, exec_lo, s2
	v_cmp_ne_u32_e32 vcc_lo, 1, v24
	v_cmp_eq_u32_e64 s2, 0, v0
	s_mov_b32 s4, -1
	s_cbranch_vccnz .LBB39_38
; %bb.35:
	v_cvt_f64_f32_e32 v[11:12], s29
	s_cmp_eq_u64 s[20:21], 8
	s_cselect_b32 vcc_lo, -1, 0
	s_wait_alu 0xfffe
	s_delay_alu instid0(VALU_DEP_1) | instskip(NEXT) | instid1(VALU_DEP_1)
	v_dual_cndmask_b32 v12, v12, v16 :: v_dual_cndmask_b32 v11, v11, v15
	v_cmp_le_f64_e32 vcc_lo, v[18:19], v[11:12]
	s_and_b32 s5, s2, vcc_lo
	s_wait_alu 0xfffe
	s_and_saveexec_b32 s4, s5
	s_cbranch_execz .LBB39_37
; %bb.36:
	global_store_b128 v[9:10], v[1:4], off
.LBB39_37:
	s_wait_alu 0xfffe
	s_or_b32 exec_lo, exec_lo, s4
	s_mov_b32 s4, 0
.LBB39_38:
	s_wait_alu 0xfffe
	s_and_not1_b32 vcc_lo, exec_lo, s4
	s_wait_alu 0xfffe
	s_cbranch_vccnz .LBB39_49
; %bb.39:
	s_load_b64 s[0:1], s[0:1], 0x48
	v_add_nc_u32_e32 v1, s28, v17
	s_wait_kmcnt 0x0
	v_cmp_ge_f64_e32 vcc_lo, s[0:1], v[18:19]
	s_and_b32 s1, s2, vcc_lo
	s_wait_alu 0xfffe
	s_and_saveexec_b32 s0, s1
	s_cbranch_execz .LBB39_44
; %bb.40:
	s_mov_b32 s4, exec_lo
	s_brev_b32 s1, -2
.LBB39_41:                              ; =>This Inner Loop Header: Depth=1
	s_wait_alu 0xfffe
	s_ctz_i32_b32 s5, s4
	s_wait_alu 0xfffe
	v_readlane_b32 s6, v1, s5
	s_lshl_b32 s5, 1, s5
	s_wait_alu 0xfffe
	s_and_not1_b32 s4, s4, s5
	s_min_i32 s1, s1, s6
	s_wait_alu 0xfffe
	s_cmp_lg_u32 s4, 0
	s_cbranch_scc1 .LBB39_41
; %bb.42:
	v_mbcnt_lo_u32_b32 v2, exec_lo, 0
	s_mov_b32 s4, exec_lo
	s_delay_alu instid0(VALU_DEP_1)
	v_cmpx_eq_u32_e32 0, v2
	s_wait_alu 0xfffe
	s_xor_b32 s4, exec_lo, s4
	s_cbranch_execz .LBB39_44
; %bb.43:
	v_dual_mov_b32 v2, 0 :: v_dual_mov_b32 v3, s1
	global_atomic_min_i32 v2, v3, s[18:19] scope:SCOPE_DEV
.LBB39_44:
	s_wait_alu 0xfffe
	s_or_b32 exec_lo, exec_lo, s0
	v_cmp_eq_f64_e32 vcc_lo, 0, v[5:6]
	v_cmp_eq_f64_e64 s0, 0, v[7:8]
	s_and_b32 s0, vcc_lo, s0
	s_wait_alu 0xfffe
	s_and_b32 s0, s2, s0
	s_wait_alu 0xfffe
	s_and_b32 exec_lo, exec_lo, s0
	s_cbranch_execz .LBB39_49
; %bb.45:
	s_mov_b32 s1, exec_lo
	s_brev_b32 s0, -2
.LBB39_46:                              ; =>This Inner Loop Header: Depth=1
	s_wait_alu 0xfffe
	s_ctz_i32_b32 s2, s1
	s_wait_alu 0xfffe
	v_readlane_b32 s4, v1, s2
	s_lshl_b32 s2, 1, s2
	s_wait_alu 0xfffe
	s_and_not1_b32 s1, s1, s2
	s_min_i32 s0, s0, s4
	s_wait_alu 0xfffe
	s_cmp_lg_u32 s1, 0
	s_cbranch_scc1 .LBB39_46
; %bb.47:
	v_mbcnt_lo_u32_b32 v1, exec_lo, 0
	s_mov_b32 s1, exec_lo
	s_delay_alu instid0(VALU_DEP_1)
	v_cmpx_eq_u32_e32 0, v1
	s_wait_alu 0xfffe
	s_xor_b32 s1, exec_lo, s1
	s_cbranch_execz .LBB39_49
; %bb.48:
	v_dual_mov_b32 v1, 0 :: v_dual_mov_b32 v2, s0
	global_atomic_min_i32 v1, v2, s[16:17] scope:SCOPE_DEV
.LBB39_49:
	s_wait_alu 0xfffe
	s_or_b32 exec_lo, exec_lo, s3
	v_cmp_eq_u32_e32 vcc_lo, 0, v0
	s_wait_loadcnt 0x0
	s_wait_storecnt 0x0
	global_inv scope:SCOPE_DEV
	s_and_b32 exec_lo, exec_lo, vcc_lo
	s_cbranch_execz .LBB39_51
; %bb.50:
	v_add_co_u32 v0, vcc_lo, s12, v13
	s_wait_alu 0xfffd
	v_add_co_ci_u32_e64 v1, null, s13, v14, vcc_lo
	v_mov_b32_e32 v2, 1
	s_wait_loadcnt 0x0
	global_store_b32 v[0:1], v2, off scope:SCOPE_DEV
.LBB39_51:
	s_endpgm
	.section	.rodata,"a",@progbits
	.p2align	6, 0x0
	.amdhsa_kernel _ZN9rocsparseL17csrilu0_binsearchILj256ELj64ELb1E21rocsparse_complex_numIdEEEviPKiS4_PT2_S4_PiS4_S7_S7_d21rocsparse_index_base_imNS_24const_host_device_scalarIfEENS9_IdEENS9_IS5_EEb
		.amdhsa_group_segment_fixed_size 0
		.amdhsa_private_segment_fixed_size 16
		.amdhsa_kernarg_size 132
		.amdhsa_user_sgpr_count 2
		.amdhsa_user_sgpr_dispatch_ptr 0
		.amdhsa_user_sgpr_queue_ptr 0
		.amdhsa_user_sgpr_kernarg_segment_ptr 1
		.amdhsa_user_sgpr_dispatch_id 0
		.amdhsa_user_sgpr_private_segment_size 0
		.amdhsa_wavefront_size32 1
		.amdhsa_uses_dynamic_stack 0
		.amdhsa_enable_private_segment 1
		.amdhsa_system_sgpr_workgroup_id_x 1
		.amdhsa_system_sgpr_workgroup_id_y 0
		.amdhsa_system_sgpr_workgroup_id_z 0
		.amdhsa_system_sgpr_workgroup_info 0
		.amdhsa_system_vgpr_workitem_id 0
		.amdhsa_next_free_vgpr 38
		.amdhsa_next_free_sgpr 30
		.amdhsa_reserve_vcc 1
		.amdhsa_float_round_mode_32 0
		.amdhsa_float_round_mode_16_64 0
		.amdhsa_float_denorm_mode_32 3
		.amdhsa_float_denorm_mode_16_64 3
		.amdhsa_fp16_overflow 0
		.amdhsa_workgroup_processor_mode 1
		.amdhsa_memory_ordered 1
		.amdhsa_forward_progress 1
		.amdhsa_inst_pref_size 24
		.amdhsa_round_robin_scheduling 0
		.amdhsa_exception_fp_ieee_invalid_op 0
		.amdhsa_exception_fp_denorm_src 0
		.amdhsa_exception_fp_ieee_div_zero 0
		.amdhsa_exception_fp_ieee_overflow 0
		.amdhsa_exception_fp_ieee_underflow 0
		.amdhsa_exception_fp_ieee_inexact 0
		.amdhsa_exception_int_div_zero 0
	.end_amdhsa_kernel
	.section	.text._ZN9rocsparseL17csrilu0_binsearchILj256ELj64ELb1E21rocsparse_complex_numIdEEEviPKiS4_PT2_S4_PiS4_S7_S7_d21rocsparse_index_base_imNS_24const_host_device_scalarIfEENS9_IdEENS9_IS5_EEb,"axG",@progbits,_ZN9rocsparseL17csrilu0_binsearchILj256ELj64ELb1E21rocsparse_complex_numIdEEEviPKiS4_PT2_S4_PiS4_S7_S7_d21rocsparse_index_base_imNS_24const_host_device_scalarIfEENS9_IdEENS9_IS5_EEb,comdat
.Lfunc_end39:
	.size	_ZN9rocsparseL17csrilu0_binsearchILj256ELj64ELb1E21rocsparse_complex_numIdEEEviPKiS4_PT2_S4_PiS4_S7_S7_d21rocsparse_index_base_imNS_24const_host_device_scalarIfEENS9_IdEENS9_IS5_EEb, .Lfunc_end39-_ZN9rocsparseL17csrilu0_binsearchILj256ELj64ELb1E21rocsparse_complex_numIdEEEviPKiS4_PT2_S4_PiS4_S7_S7_d21rocsparse_index_base_imNS_24const_host_device_scalarIfEENS9_IdEENS9_IS5_EEb
                                        ; -- End function
	.set _ZN9rocsparseL17csrilu0_binsearchILj256ELj64ELb1E21rocsparse_complex_numIdEEEviPKiS4_PT2_S4_PiS4_S7_S7_d21rocsparse_index_base_imNS_24const_host_device_scalarIfEENS9_IdEENS9_IS5_EEb.num_vgpr, 38
	.set _ZN9rocsparseL17csrilu0_binsearchILj256ELj64ELb1E21rocsparse_complex_numIdEEEviPKiS4_PT2_S4_PiS4_S7_S7_d21rocsparse_index_base_imNS_24const_host_device_scalarIfEENS9_IdEENS9_IS5_EEb.num_agpr, 0
	.set _ZN9rocsparseL17csrilu0_binsearchILj256ELj64ELb1E21rocsparse_complex_numIdEEEviPKiS4_PT2_S4_PiS4_S7_S7_d21rocsparse_index_base_imNS_24const_host_device_scalarIfEENS9_IdEENS9_IS5_EEb.numbered_sgpr, 30
	.set _ZN9rocsparseL17csrilu0_binsearchILj256ELj64ELb1E21rocsparse_complex_numIdEEEviPKiS4_PT2_S4_PiS4_S7_S7_d21rocsparse_index_base_imNS_24const_host_device_scalarIfEENS9_IdEENS9_IS5_EEb.num_named_barrier, 0
	.set _ZN9rocsparseL17csrilu0_binsearchILj256ELj64ELb1E21rocsparse_complex_numIdEEEviPKiS4_PT2_S4_PiS4_S7_S7_d21rocsparse_index_base_imNS_24const_host_device_scalarIfEENS9_IdEENS9_IS5_EEb.private_seg_size, 16
	.set _ZN9rocsparseL17csrilu0_binsearchILj256ELj64ELb1E21rocsparse_complex_numIdEEEviPKiS4_PT2_S4_PiS4_S7_S7_d21rocsparse_index_base_imNS_24const_host_device_scalarIfEENS9_IdEENS9_IS5_EEb.uses_vcc, 1
	.set _ZN9rocsparseL17csrilu0_binsearchILj256ELj64ELb1E21rocsparse_complex_numIdEEEviPKiS4_PT2_S4_PiS4_S7_S7_d21rocsparse_index_base_imNS_24const_host_device_scalarIfEENS9_IdEENS9_IS5_EEb.uses_flat_scratch, 0
	.set _ZN9rocsparseL17csrilu0_binsearchILj256ELj64ELb1E21rocsparse_complex_numIdEEEviPKiS4_PT2_S4_PiS4_S7_S7_d21rocsparse_index_base_imNS_24const_host_device_scalarIfEENS9_IdEENS9_IS5_EEb.has_dyn_sized_stack, 0
	.set _ZN9rocsparseL17csrilu0_binsearchILj256ELj64ELb1E21rocsparse_complex_numIdEEEviPKiS4_PT2_S4_PiS4_S7_S7_d21rocsparse_index_base_imNS_24const_host_device_scalarIfEENS9_IdEENS9_IS5_EEb.has_recursion, 0
	.set _ZN9rocsparseL17csrilu0_binsearchILj256ELj64ELb1E21rocsparse_complex_numIdEEEviPKiS4_PT2_S4_PiS4_S7_S7_d21rocsparse_index_base_imNS_24const_host_device_scalarIfEENS9_IdEENS9_IS5_EEb.has_indirect_call, 0
	.section	.AMDGPU.csdata,"",@progbits
; Kernel info:
; codeLenInByte = 2948
; TotalNumSgprs: 32
; NumVgprs: 38
; ScratchSize: 16
; MemoryBound: 0
; FloatMode: 240
; IeeeMode: 1
; LDSByteSize: 0 bytes/workgroup (compile time only)
; SGPRBlocks: 0
; VGPRBlocks: 4
; NumSGPRsForWavesPerEU: 32
; NumVGPRsForWavesPerEU: 38
; Occupancy: 16
; WaveLimiterHint : 1
; COMPUTE_PGM_RSRC2:SCRATCH_EN: 1
; COMPUTE_PGM_RSRC2:USER_SGPR: 2
; COMPUTE_PGM_RSRC2:TRAP_HANDLER: 0
; COMPUTE_PGM_RSRC2:TGID_X_EN: 1
; COMPUTE_PGM_RSRC2:TGID_Y_EN: 0
; COMPUTE_PGM_RSRC2:TGID_Z_EN: 0
; COMPUTE_PGM_RSRC2:TIDIG_COMP_CNT: 0
	.section	.text._ZN9rocsparseL12csrilu0_hashILj256ELj32ELj1E21rocsparse_complex_numIdEEEviPKiS4_PT2_S4_PiS4_S7_S7_d21rocsparse_index_base_imNS_24const_host_device_scalarIfEENS9_IdEENS9_IS5_EEb,"axG",@progbits,_ZN9rocsparseL12csrilu0_hashILj256ELj32ELj1E21rocsparse_complex_numIdEEEviPKiS4_PT2_S4_PiS4_S7_S7_d21rocsparse_index_base_imNS_24const_host_device_scalarIfEENS9_IdEENS9_IS5_EEb,comdat
	.globl	_ZN9rocsparseL12csrilu0_hashILj256ELj32ELj1E21rocsparse_complex_numIdEEEviPKiS4_PT2_S4_PiS4_S7_S7_d21rocsparse_index_base_imNS_24const_host_device_scalarIfEENS9_IdEENS9_IS5_EEb ; -- Begin function _ZN9rocsparseL12csrilu0_hashILj256ELj32ELj1E21rocsparse_complex_numIdEEEviPKiS4_PT2_S4_PiS4_S7_S7_d21rocsparse_index_base_imNS_24const_host_device_scalarIfEENS9_IdEENS9_IS5_EEb
	.p2align	8
	.type	_ZN9rocsparseL12csrilu0_hashILj256ELj32ELj1E21rocsparse_complex_numIdEEEviPKiS4_PT2_S4_PiS4_S7_S7_d21rocsparse_index_base_imNS_24const_host_device_scalarIfEENS9_IdEENS9_IS5_EEb,@function
_ZN9rocsparseL12csrilu0_hashILj256ELj32ELj1E21rocsparse_complex_numIdEEEviPKiS4_PT2_S4_PiS4_S7_S7_d21rocsparse_index_base_imNS_24const_host_device_scalarIfEENS9_IdEENS9_IS5_EEb: ; @_ZN9rocsparseL12csrilu0_hashILj256ELj32ELj1E21rocsparse_complex_numIdEEEviPKiS4_PT2_S4_PiS4_S7_S7_d21rocsparse_index_base_imNS_24const_host_device_scalarIfEENS9_IdEENS9_IS5_EEb
; %bb.0:
	s_clause 0x2
	s_load_b96 s[4:6], s[0:1], 0x78
	s_load_b64 s[28:29], s[0:1], 0x50
	s_load_b256 s[20:27], s[0:1], 0x58
	s_wait_kmcnt 0x0
	s_bitcmp1_b32 s6, 0
	s_cselect_b32 s6, -1, 0
	s_cmp_eq_u32 s29, 0
	v_dual_mov_b32 v1, s26 :: v_dual_mov_b32 v2, s27
	s_cselect_b32 s2, -1, 0
	s_cmp_lg_u32 s29, 0
	s_cselect_b32 s7, -1, 0
	s_or_b32 s9, s2, s6
	scratch_store_b64 off, v[1:2], off
	s_xor_b32 s8, s9, -1
	s_and_b32 s2, s2, exec_lo
	s_cselect_b32 s3, 0, s25
	s_cselect_b32 s2, 0, s24
	;; [unrolled: 1-line block ×3, first 2 shown]
	s_and_b32 vcc_lo, exec_lo, s9
	s_cbranch_vccnz .LBB40_2
; %bb.1:
	s_load_b32 s29, s[22:23], 0x0
	s_mov_b64 s[2:3], s[24:25]
.LBB40_2:
	s_delay_alu instid0(SALU_CYCLE_1)
	v_dual_mov_b32 v16, s3 :: v_dual_mov_b32 v15, s2
	s_and_not1_b32 vcc_lo, exec_lo, s8
	s_cbranch_vccnz .LBB40_4
; %bb.3:
	v_dual_mov_b32 v1, s24 :: v_dual_mov_b32 v2, s25
	flat_load_b64 v[15:16], v[1:2]
.LBB40_4:
	v_mov_b32_e32 v3, 0
	v_dual_mov_b32 v4, 0 :: v_dual_mov_b32 v1, 0
	v_cndmask_b32_e64 v24, 0, 1, s7
	v_mov_b32_e32 v2, 0
	s_and_not1_b32 vcc_lo, exec_lo, s7
	s_cbranch_vccnz .LBB40_7
; %bb.5:
	s_mov_b64 s[2:3], src_private_base
	s_xor_b32 s2, s6, -1
	s_and_b32 s6, s6, exec_lo
	s_cselect_b32 s6, 0, s26
	s_wait_alu 0xfffe
	s_cselect_b32 s3, s3, s27
	s_wait_alu 0xfffe
	v_dual_mov_b32 v1, s6 :: v_dual_mov_b32 v2, s3
	v_dual_mov_b32 v3, s4 :: v_dual_mov_b32 v4, s5
	s_and_not1_b32 vcc_lo, exec_lo, s2
	flat_load_b64 v[1:2], v[1:2]
	s_cbranch_vccnz .LBB40_7
; %bb.6:
	v_dual_mov_b32 v3, s26 :: v_dual_mov_b32 v4, s27
	flat_load_b64 v[3:4], v[3:4] offset:8
.LBB40_7:
	s_load_b32 s2, s[0:1], 0x0
	v_and_b32_e32 v6, 0xe0, v0
	v_lshrrev_b32_e32 v5, 5, v0
	s_lshl_b32 s3, ttmp9, 3
	v_and_b32_e32 v0, 31, v0
	v_mov_b32_e32 v8, -1
	v_lshl_or_b32 v25, v6, 2, 0x400
	s_wait_alu 0xfffe
	v_and_or_b32 v5, 0x7fffff8, s3, v5
	s_delay_alu instid0(VALU_DEP_2)
	v_lshl_or_b32 v7, v0, 2, v25
	ds_store_b32 v7, v8
	s_wait_storecnt 0x0
	s_wait_loadcnt_dscnt 0x0
	global_inv scope:SCOPE_SE
	s_wait_kmcnt 0x0
	v_cmp_gt_i32_e32 vcc_lo, s2, v5
	s_and_saveexec_b32 s2, vcc_lo
	s_cbranch_execz .LBB40_85
; %bb.8:
	s_load_b512 s[4:19], s[0:1], 0x8
	v_lshlrev_b32_e32 v5, 2, v5
	v_lshlrev_b32_e32 v26, 2, v6
	s_mov_b32 s2, exec_lo
	s_wait_kmcnt 0x0
	global_load_b32 v17, v5, s[14:15]
	s_wait_loadcnt 0x0
	v_ashrrev_i32_e32 v18, 31, v17
	s_delay_alu instid0(VALU_DEP_1) | instskip(NEXT) | instid1(VALU_DEP_1)
	v_lshlrev_b64_e32 v[13:14], 2, v[17:18]
	v_add_co_u32 v7, vcc_lo, s4, v13
	s_delay_alu instid0(VALU_DEP_1)
	v_add_co_ci_u32_e64 v8, null, s5, v14, vcc_lo
	v_add_co_u32 v9, vcc_lo, s10, v13
	s_wait_alu 0xfffd
	v_add_co_ci_u32_e64 v10, null, s11, v14, vcc_lo
	global_load_b64 v[7:8], v[7:8], off
	global_load_b32 v18, v[9:10], off
	s_wait_loadcnt 0x1
	v_subrev_nc_u32_e32 v19, s28, v7
	v_subrev_nc_u32_e32 v7, s28, v8
	s_delay_alu instid0(VALU_DEP_2) | instskip(NEXT) | instid1(VALU_DEP_1)
	v_add_nc_u32_e32 v5, v19, v0
	v_cmpx_lt_i32_e64 v5, v7
	s_cbranch_execz .LBB40_31
; %bb.9:
	v_mov_b32_e32 v8, -1
	s_mov_b32 s3, 0
	s_branch .LBB40_11
.LBB40_10:                              ;   in Loop: Header=BB40_11 Depth=1
	s_or_b32 exec_lo, exec_lo, s14
	v_add_nc_u32_e32 v5, 32, v5
	s_delay_alu instid0(VALU_DEP_1)
	v_cmp_ge_i32_e32 vcc_lo, v5, v7
	s_or_b32 s3, vcc_lo, s3
	s_wait_alu 0xfffe
	s_and_not1_b32 exec_lo, exec_lo, s3
	s_cbranch_execz .LBB40_31
.LBB40_11:                              ; =>This Loop Header: Depth=1
                                        ;     Child Loop BB40_20 Depth 2
	v_ashrrev_i32_e32 v6, 31, v5
	s_mov_b32 s14, 0
                                        ; implicit-def: $sgpr15
                                        ; implicit-def: $sgpr22
                                        ; implicit-def: $sgpr23
	s_delay_alu instid0(VALU_DEP_1) | instskip(NEXT) | instid1(VALU_DEP_1)
	v_lshlrev_b64_e32 v[9:10], 2, v[5:6]
	v_add_co_u32 v9, vcc_lo, s6, v9
	s_wait_alu 0xfffd
	s_delay_alu instid0(VALU_DEP_2)
	v_add_co_ci_u32_e64 v10, null, s7, v10, vcc_lo
	global_load_b32 v6, v[9:10], off
	v_mov_b32_e32 v9, 32
	s_wait_loadcnt 0x0
	v_mul_lo_u32 v11, v6, 7
	s_branch .LBB40_20
.LBB40_12:                              ;   in Loop: Header=BB40_20 Depth=2
	s_or_b32 exec_lo, exec_lo, s36
	s_delay_alu instid0(SALU_CYCLE_1)
	s_or_not1_b32 s34, s34, exec_lo
	s_or_not1_b32 s35, s35, exec_lo
.LBB40_13:                              ;   in Loop: Header=BB40_20 Depth=2
	s_or_b32 exec_lo, exec_lo, s33
	s_delay_alu instid0(SALU_CYCLE_1)
	s_and_b32 s34, s34, exec_lo
	s_or_not1_b32 s33, s35, exec_lo
.LBB40_14:                              ;   in Loop: Header=BB40_20 Depth=2
	s_or_b32 exec_lo, exec_lo, s31
	s_delay_alu instid0(SALU_CYCLE_1)
	s_or_not1_b32 s31, s34, exec_lo
	s_or_not1_b32 s33, s33, exec_lo
.LBB40_15:                              ;   in Loop: Header=BB40_20 Depth=2
	s_or_b32 exec_lo, exec_lo, s30
	s_delay_alu instid0(SALU_CYCLE_1)
	s_and_b32 s31, s31, exec_lo
	s_or_not1_b32 s30, s33, exec_lo
.LBB40_16:                              ;   in Loop: Header=BB40_20 Depth=2
	s_wait_alu 0xfffe
	s_or_b32 exec_lo, exec_lo, s27
	s_delay_alu instid0(SALU_CYCLE_1)
	s_or_not1_b32 s27, s31, exec_lo
	s_or_not1_b32 s30, s30, exec_lo
.LBB40_17:                              ;   in Loop: Header=BB40_20 Depth=2
	s_wait_alu 0xfffe
	s_or_b32 exec_lo, exec_lo, s26
	s_delay_alu instid0(SALU_CYCLE_1)
	s_and_b32 s27, s27, exec_lo
	s_or_not1_b32 s26, s30, exec_lo
.LBB40_18:                              ;   in Loop: Header=BB40_20 Depth=2
	s_wait_alu 0xfffe
	s_or_b32 exec_lo, exec_lo, s25
	s_delay_alu instid0(SALU_CYCLE_1)
	s_and_not1_b32 s23, s23, exec_lo
	s_and_b32 s25, s27, exec_lo
	s_and_not1_b32 s22, s22, exec_lo
	s_and_b32 s26, s26, exec_lo
	s_wait_alu 0xfffe
	s_or_b32 s23, s23, s25
	s_or_b32 s22, s22, s26
.LBB40_19:                              ;   in Loop: Header=BB40_20 Depth=2
	s_wait_alu 0xfffe
	s_or_b32 exec_lo, exec_lo, s24
	s_delay_alu instid0(SALU_CYCLE_1)
	s_and_b32 s24, exec_lo, s22
	s_wait_alu 0xfffe
	s_or_b32 s14, s24, s14
	s_and_not1_b32 s15, s15, exec_lo
	s_and_b32 s24, s23, exec_lo
	s_wait_alu 0xfffe
	s_or_b32 s15, s15, s24
	s_and_not1_b32 exec_lo, exec_lo, s14
	s_cbranch_execz .LBB40_29
.LBB40_20:                              ;   Parent Loop BB40_11 Depth=1
                                        ; =>  This Inner Loop Header: Depth=2
	s_delay_alu instid0(VALU_DEP_1) | instskip(SKIP_3) | instid1(VALU_DEP_1)
	v_and_b32_e32 v10, 31, v11
	s_or_b32 s23, s23, exec_lo
	s_or_b32 s22, s22, exec_lo
	s_mov_b32 s24, exec_lo
	v_lshl_add_u32 v12, v10, 2, v25
	ds_load_b32 v20, v12
	s_wait_dscnt 0x0
	v_cmpx_ne_u32_e64 v20, v6
	s_cbranch_execz .LBB40_19
; %bb.21:                               ;   in Loop: Header=BB40_20 Depth=2
	ds_cmpstore_rtn_b32 v12, v12, v6, v8
	s_mov_b32 s26, -1
	s_mov_b32 s27, 0
	s_mov_b32 s25, exec_lo
	s_wait_dscnt 0x0
	v_cmpx_ne_u32_e32 -1, v12
	s_cbranch_execz .LBB40_18
; %bb.22:                               ;   in Loop: Header=BB40_20 Depth=2
	v_add_nc_u32_e32 v10, 1, v11
	s_mov_b32 s30, -1
	s_mov_b32 s27, -1
	s_mov_b32 s26, exec_lo
	s_delay_alu instid0(VALU_DEP_1) | instskip(NEXT) | instid1(VALU_DEP_1)
	v_and_b32_e32 v10, 31, v10
	v_lshl_add_u32 v12, v10, 2, v25
	ds_load_b32 v20, v12
	s_wait_dscnt 0x0
	v_cmpx_ne_u32_e64 v20, v6
	s_cbranch_execz .LBB40_17
; %bb.23:                               ;   in Loop: Header=BB40_20 Depth=2
	ds_cmpstore_rtn_b32 v12, v12, v6, v8
	s_mov_b32 s31, 0
	s_mov_b32 s27, exec_lo
	s_wait_dscnt 0x0
	v_cmpx_ne_u32_e32 -1, v12
	s_cbranch_execz .LBB40_16
; %bb.24:                               ;   in Loop: Header=BB40_20 Depth=2
	v_add_nc_u32_e32 v10, 2, v11
	s_mov_b32 s33, -1
	s_mov_b32 s31, -1
	s_mov_b32 s30, exec_lo
	s_delay_alu instid0(VALU_DEP_1) | instskip(NEXT) | instid1(VALU_DEP_1)
	v_and_b32_e32 v10, 31, v10
	v_lshl_add_u32 v12, v10, 2, v25
	ds_load_b32 v20, v12
	s_wait_dscnt 0x0
	v_cmpx_ne_u32_e64 v20, v6
	s_cbranch_execz .LBB40_15
; %bb.25:                               ;   in Loop: Header=BB40_20 Depth=2
	ds_cmpstore_rtn_b32 v12, v12, v6, v8
	s_mov_b32 s34, 0
	s_mov_b32 s31, exec_lo
	s_wait_dscnt 0x0
	v_cmpx_ne_u32_e32 -1, v12
	s_cbranch_execz .LBB40_14
; %bb.26:                               ;   in Loop: Header=BB40_20 Depth=2
	v_add_nc_u32_e32 v10, 3, v11
	s_mov_b32 s35, -1
	s_mov_b32 s34, -1
	s_delay_alu instid0(VALU_DEP_1) | instskip(NEXT) | instid1(VALU_DEP_1)
	v_and_b32_e32 v10, 31, v10
	v_lshl_add_u32 v12, v10, 2, v25
	ds_load_b32 v11, v12
	s_wait_dscnt 0x0
	v_cmp_ne_u32_e32 vcc_lo, v11, v6
                                        ; implicit-def: $vgpr11
	s_and_saveexec_b32 s33, vcc_lo
	s_cbranch_execz .LBB40_13
; %bb.27:                               ;   in Loop: Header=BB40_20 Depth=2
	ds_cmpstore_rtn_b32 v11, v12, v6, v8
	s_mov_b32 s34, 0
	s_wait_dscnt 0x0
	v_cmp_ne_u32_e32 vcc_lo, -1, v11
                                        ; implicit-def: $vgpr11
	s_and_saveexec_b32 s36, vcc_lo
	s_cbranch_execz .LBB40_12
; %bb.28:                               ;   in Loop: Header=BB40_20 Depth=2
	v_add_nc_u32_e32 v9, -4, v9
	v_add_nc_u32_e32 v11, 1, v10
	s_mov_b32 s34, exec_lo
	s_delay_alu instid0(VALU_DEP_2)
	v_cmp_eq_u32_e32 vcc_lo, 0, v9
	s_or_not1_b32 s35, vcc_lo, exec_lo
	s_branch .LBB40_12
.LBB40_29:                              ;   in Loop: Header=BB40_11 Depth=1
	s_or_b32 exec_lo, exec_lo, s14
	s_xor_b32 s14, s15, -1
	s_delay_alu instid0(SALU_CYCLE_1) | instskip(NEXT) | instid1(SALU_CYCLE_1)
	s_and_saveexec_b32 s15, s14
	s_xor_b32 s14, exec_lo, s15
	s_cbranch_execz .LBB40_10
; %bb.30:                               ;   in Loop: Header=BB40_11 Depth=1
	v_lshl_add_u32 v6, v10, 2, v26
	ds_store_b32 v6, v5
	s_branch .LBB40_10
.LBB40_31:
	s_wait_alu 0xfffe
	s_or_b32 exec_lo, exec_lo, s2
	s_delay_alu instid0(SALU_CYCLE_1)
	s_mov_b32 s3, exec_lo
	s_wait_loadcnt_dscnt 0x0
	global_inv scope:SCOPE_SE
	v_cmpx_lt_i32_e64 v19, v18
	s_cbranch_execz .LBB40_61
; %bb.32:
	v_add_nc_u32_e32 v27, 1, v0
	s_mov_b32 s14, 0
	s_branch .LBB40_35
.LBB40_33:                              ;   in Loop: Header=BB40_35 Depth=1
	s_or_b32 exec_lo, exec_lo, s15
	v_add_nc_u32_e32 v19, 1, v19
	s_delay_alu instid0(VALU_DEP_1)
	v_cmp_ge_i32_e32 vcc_lo, v19, v18
	s_or_not1_b32 s15, vcc_lo, exec_lo
.LBB40_34:                              ;   in Loop: Header=BB40_35 Depth=1
	s_wait_alu 0xfffe
	s_or_b32 exec_lo, exec_lo, s2
	s_delay_alu instid0(SALU_CYCLE_1) | instskip(SKIP_2) | instid1(SALU_CYCLE_1)
	s_and_b32 s2, exec_lo, s15
	s_wait_alu 0xfffe
	s_or_b32 s14, s2, s14
	s_and_not1_b32 exec_lo, exec_lo, s14
	s_cbranch_execz .LBB40_61
.LBB40_35:                              ; =>This Loop Header: Depth=1
                                        ;     Child Loop BB40_36 Depth 2
                                        ;     Child Loop BB40_41 Depth 2
                                        ;       Child Loop BB40_50 Depth 3
	v_ashrrev_i32_e32 v20, 31, v19
	s_mov_b32 s2, 0
	s_delay_alu instid0(VALU_DEP_1) | instskip(SKIP_1) | instid1(VALU_DEP_2)
	v_lshlrev_b64_e32 v[5:6], 2, v[19:20]
	v_lshlrev_b64_e32 v[7:8], 4, v[19:20]
	v_add_co_u32 v5, vcc_lo, s6, v5
	s_wait_alu 0xfffd
	s_delay_alu instid0(VALU_DEP_3) | instskip(NEXT) | instid1(VALU_DEP_3)
	v_add_co_ci_u32_e64 v6, null, s7, v6, vcc_lo
	v_add_co_u32 v20, vcc_lo, s8, v7
	s_wait_alu 0xfffd
	v_add_co_ci_u32_e64 v21, null, s9, v8, vcc_lo
	global_load_b32 v5, v[5:6], off
	s_wait_loadcnt 0x0
	v_subrev_nc_u32_e32 v5, s28, v5
	s_delay_alu instid0(VALU_DEP_1) | instskip(NEXT) | instid1(VALU_DEP_1)
	v_ashrrev_i32_e32 v6, 31, v5
	v_lshlrev_b64_e32 v[9:10], 2, v[5:6]
	s_delay_alu instid0(VALU_DEP_1) | instskip(SKIP_1) | instid1(VALU_DEP_2)
	v_add_co_u32 v11, vcc_lo, s4, v9
	s_wait_alu 0xfffd
	v_add_co_ci_u32_e64 v12, null, s5, v10, vcc_lo
	v_add_co_u32 v22, vcc_lo, s10, v9
	s_wait_alu 0xfffd
	v_add_co_ci_u32_e64 v23, null, s11, v10, vcc_lo
	global_load_b128 v[5:8], v[20:21], off
	global_load_b32 v11, v[11:12], off offset:4
	global_load_b32 v12, v[22:23], off
	v_add_co_u32 v9, vcc_lo, s12, v9
	s_wait_alu 0xfffd
	v_add_co_ci_u32_e64 v10, null, s13, v10, vcc_lo
.LBB40_36:                              ;   Parent Loop BB40_35 Depth=1
                                        ; =>  This Inner Loop Header: Depth=2
	global_load_b32 v22, v[9:10], off scope:SCOPE_DEV
	s_wait_loadcnt 0x0
	v_cmp_ne_u32_e32 vcc_lo, 0, v22
	s_wait_alu 0xfffe
	s_or_b32 s2, vcc_lo, s2
	s_wait_alu 0xfffe
	s_and_not1_b32 exec_lo, exec_lo, s2
	s_cbranch_execnz .LBB40_36
; %bb.37:                               ;   in Loop: Header=BB40_35 Depth=1
	s_or_b32 exec_lo, exec_lo, s2
	v_subrev_nc_u32_e32 v28, s28, v11
	v_cmp_eq_u32_e32 vcc_lo, -1, v12
	global_inv scope:SCOPE_DEV
	s_mov_b32 s15, -1
	v_add_nc_u32_e32 v9, -1, v28
	s_wait_alu 0xfffd
	s_delay_alu instid0(VALU_DEP_1) | instskip(NEXT) | instid1(VALU_DEP_1)
	v_cndmask_b32_e32 v22, v12, v9, vcc_lo
	v_ashrrev_i32_e32 v23, 31, v22
	s_delay_alu instid0(VALU_DEP_1) | instskip(NEXT) | instid1(VALU_DEP_1)
	v_lshlrev_b64_e32 v[9:10], 4, v[22:23]
	v_add_co_u32 v9, vcc_lo, s8, v9
	s_wait_alu 0xfffd
	s_delay_alu instid0(VALU_DEP_2)
	v_add_co_ci_u32_e64 v10, null, s9, v10, vcc_lo
	global_load_b128 v[9:12], v[9:10], off
	s_wait_loadcnt 0x0
	v_cmp_neq_f64_e32 vcc_lo, 0, v[9:10]
	v_cmp_neq_f64_e64 s2, 0, v[11:12]
	s_or_b32 s22, vcc_lo, s2
	s_delay_alu instid0(SALU_CYCLE_1)
	s_and_saveexec_b32 s2, s22
	s_cbranch_execz .LBB40_34
; %bb.38:                               ;   in Loop: Header=BB40_35 Depth=1
	v_mul_f64_e32 v[29:30], v[11:12], v[11:12]
	s_mov_b32 s15, exec_lo
	s_delay_alu instid0(VALU_DEP_1) | instskip(NEXT) | instid1(VALU_DEP_1)
	v_fma_f64 v[29:30], v[9:10], v[9:10], v[29:30]
	v_div_scale_f64 v[31:32], null, v[29:30], v[29:30], 1.0
	v_div_scale_f64 v[37:38], vcc_lo, 1.0, v[29:30], 1.0
	s_delay_alu instid0(VALU_DEP_2) | instskip(NEXT) | instid1(TRANS32_DEP_1)
	v_rcp_f64_e32 v[33:34], v[31:32]
	v_fma_f64 v[35:36], -v[31:32], v[33:34], 1.0
	s_delay_alu instid0(VALU_DEP_1) | instskip(NEXT) | instid1(VALU_DEP_1)
	v_fma_f64 v[33:34], v[33:34], v[35:36], v[33:34]
	v_fma_f64 v[35:36], -v[31:32], v[33:34], 1.0
	s_delay_alu instid0(VALU_DEP_1) | instskip(NEXT) | instid1(VALU_DEP_1)
	v_fma_f64 v[33:34], v[33:34], v[35:36], v[33:34]
	v_mul_f64_e32 v[35:36], v[37:38], v[33:34]
	s_delay_alu instid0(VALU_DEP_1) | instskip(SKIP_3) | instid1(VALU_DEP_3)
	v_fma_f64 v[31:32], -v[31:32], v[35:36], v[37:38]
	v_mul_f64_e32 v[37:38], v[7:8], v[11:12]
	v_mul_f64_e64 v[11:12], v[11:12], -v[5:6]
	s_wait_alu 0xfffd
	v_div_fmas_f64 v[31:32], v[31:32], v[33:34], v[35:36]
	s_delay_alu instid0(VALU_DEP_3) | instskip(NEXT) | instid1(VALU_DEP_3)
	v_fma_f64 v[5:6], v[5:6], v[9:10], v[37:38]
	v_fma_f64 v[7:8], v[7:8], v[9:10], v[11:12]
	v_add_nc_u32_e32 v9, v27, v22
	s_delay_alu instid0(VALU_DEP_4) | instskip(NEXT) | instid1(VALU_DEP_1)
	v_div_fixup_f64 v[29:30], v[31:32], v[29:30], 1.0
	v_mul_f64_e32 v[5:6], v[5:6], v[29:30]
	s_delay_alu instid0(VALU_DEP_4)
	v_mul_f64_e32 v[7:8], v[7:8], v[29:30]
	global_store_b128 v[20:21], v[5:8], off
	v_cmpx_lt_i32_e64 v9, v28
	s_cbranch_execz .LBB40_33
; %bb.39:                               ;   in Loop: Header=BB40_35 Depth=1
	s_mov_b32 s22, 0
	s_branch .LBB40_41
.LBB40_40:                              ;   in Loop: Header=BB40_41 Depth=2
	s_or_b32 exec_lo, exec_lo, s23
	v_add_nc_u32_e32 v9, 32, v9
	s_delay_alu instid0(VALU_DEP_1) | instskip(SKIP_1) | instid1(SALU_CYCLE_1)
	v_cmp_ge_i32_e32 vcc_lo, v9, v28
	s_or_b32 s22, vcc_lo, s22
	s_and_not1_b32 exec_lo, exec_lo, s22
	s_cbranch_execz .LBB40_33
.LBB40_41:                              ;   Parent Loop BB40_35 Depth=1
                                        ; =>  This Loop Header: Depth=2
                                        ;       Child Loop BB40_50 Depth 3
	v_ashrrev_i32_e32 v10, 31, v9
	s_mov_b32 s23, 0
                                        ; implicit-def: $sgpr24
                                        ; implicit-def: $sgpr25
                                        ; implicit-def: $sgpr26
	s_delay_alu instid0(VALU_DEP_1) | instskip(NEXT) | instid1(VALU_DEP_1)
	v_lshlrev_b64_e32 v[11:12], 2, v[9:10]
	v_add_co_u32 v11, vcc_lo, s6, v11
	s_wait_alu 0xfffd
	s_delay_alu instid0(VALU_DEP_2)
	v_add_co_ci_u32_e64 v12, null, s7, v12, vcc_lo
	global_load_b32 v11, v[11:12], off
	v_mov_b32_e32 v12, 32
	s_wait_loadcnt 0x0
	v_mul_lo_u32 v21, v11, 7
	s_branch .LBB40_50
.LBB40_42:                              ;   in Loop: Header=BB40_50 Depth=3
	s_or_b32 exec_lo, exec_lo, s39
	s_delay_alu instid0(SALU_CYCLE_1)
	s_or_not1_b32 s37, s37, exec_lo
	s_or_not1_b32 s38, s38, exec_lo
.LBB40_43:                              ;   in Loop: Header=BB40_50 Depth=3
	s_or_b32 exec_lo, exec_lo, s36
	s_delay_alu instid0(SALU_CYCLE_1)
	s_and_b32 s37, s37, exec_lo
	s_or_not1_b32 s36, s38, exec_lo
.LBB40_44:                              ;   in Loop: Header=BB40_50 Depth=3
	s_or_b32 exec_lo, exec_lo, s35
	s_delay_alu instid0(SALU_CYCLE_1)
	s_or_not1_b32 s35, s37, exec_lo
	s_or_not1_b32 s36, s36, exec_lo
.LBB40_45:                              ;   in Loop: Header=BB40_50 Depth=3
	s_or_b32 exec_lo, exec_lo, s34
	s_delay_alu instid0(SALU_CYCLE_1)
	s_and_b32 s35, s35, exec_lo
	s_or_not1_b32 s34, s36, exec_lo
.LBB40_46:                              ;   in Loop: Header=BB40_50 Depth=3
	s_or_b32 exec_lo, exec_lo, s33
	s_delay_alu instid0(SALU_CYCLE_1)
	s_or_not1_b32 s33, s35, exec_lo
	s_or_not1_b32 s34, s34, exec_lo
.LBB40_47:                              ;   in Loop: Header=BB40_50 Depth=3
	s_or_b32 exec_lo, exec_lo, s31
	s_delay_alu instid0(SALU_CYCLE_1)
	s_and_b32 s33, s33, exec_lo
	s_or_not1_b32 s31, s34, exec_lo
.LBB40_48:                              ;   in Loop: Header=BB40_50 Depth=3
	s_or_b32 exec_lo, exec_lo, s30
	s_wait_alu 0xfffe
	s_and_not1_b32 s26, s26, exec_lo
	s_and_b32 s30, s33, exec_lo
	s_and_not1_b32 s25, s25, exec_lo
	s_and_b32 s31, s31, exec_lo
	s_wait_alu 0xfffe
	s_or_b32 s26, s26, s30
	s_or_b32 s25, s25, s31
.LBB40_49:                              ;   in Loop: Header=BB40_50 Depth=3
	s_wait_alu 0xfffe
	s_or_b32 exec_lo, exec_lo, s27
	s_delay_alu instid0(SALU_CYCLE_1)
	s_and_b32 s27, exec_lo, s25
	s_wait_alu 0xfffe
	s_or_b32 s23, s27, s23
	s_and_not1_b32 s24, s24, exec_lo
	s_and_b32 s27, s26, exec_lo
	s_wait_alu 0xfffe
	s_or_b32 s24, s24, s27
	s_and_not1_b32 exec_lo, exec_lo, s23
	s_cbranch_execz .LBB40_59
.LBB40_50:                              ;   Parent Loop BB40_35 Depth=1
                                        ;     Parent Loop BB40_41 Depth=2
                                        ; =>    This Inner Loop Header: Depth=3
	s_delay_alu instid0(VALU_DEP_1) | instskip(SKIP_3) | instid1(VALU_DEP_1)
	v_and_b32_e32 v20, 31, v21
	s_or_b32 s26, s26, exec_lo
	s_or_b32 s25, s25, exec_lo
	s_mov_b32 s27, exec_lo
	v_lshl_add_u32 v22, v20, 2, v25
	ds_load_b32 v22, v22
	s_wait_dscnt 0x0
	v_cmpx_ne_u32_e32 -1, v22
	s_cbranch_execz .LBB40_49
; %bb.51:                               ;   in Loop: Header=BB40_50 Depth=3
	s_mov_b32 s31, -1
	s_mov_b32 s33, 0
	s_mov_b32 s30, exec_lo
	v_cmpx_ne_u32_e64 v22, v11
	s_cbranch_execz .LBB40_48
; %bb.52:                               ;   in Loop: Header=BB40_50 Depth=3
	v_add_nc_u32_e32 v20, 1, v21
	s_mov_b32 s34, -1
	s_mov_b32 s33, -1
	s_mov_b32 s31, exec_lo
	s_delay_alu instid0(VALU_DEP_1) | instskip(NEXT) | instid1(VALU_DEP_1)
	v_and_b32_e32 v20, 31, v20
	v_lshl_add_u32 v22, v20, 2, v25
	ds_load_b32 v22, v22
	s_wait_dscnt 0x0
	v_cmpx_ne_u32_e32 -1, v22
	s_cbranch_execz .LBB40_47
; %bb.53:                               ;   in Loop: Header=BB40_50 Depth=3
	s_mov_b32 s35, 0
	s_mov_b32 s33, exec_lo
	v_cmpx_ne_u32_e64 v22, v11
	s_cbranch_execz .LBB40_46
; %bb.54:                               ;   in Loop: Header=BB40_50 Depth=3
	v_add_nc_u32_e32 v20, 2, v21
	s_mov_b32 s36, -1
	s_mov_b32 s35, -1
	s_mov_b32 s34, exec_lo
	s_delay_alu instid0(VALU_DEP_1) | instskip(NEXT) | instid1(VALU_DEP_1)
	v_and_b32_e32 v20, 31, v20
	v_lshl_add_u32 v22, v20, 2, v25
	ds_load_b32 v22, v22
	s_wait_dscnt 0x0
	v_cmpx_ne_u32_e32 -1, v22
	s_cbranch_execz .LBB40_45
; %bb.55:                               ;   in Loop: Header=BB40_50 Depth=3
	s_mov_b32 s37, 0
	s_mov_b32 s35, exec_lo
	v_cmpx_ne_u32_e64 v22, v11
	s_cbranch_execz .LBB40_44
; %bb.56:                               ;   in Loop: Header=BB40_50 Depth=3
	v_add_nc_u32_e32 v20, 3, v21
	s_mov_b32 s38, -1
	s_mov_b32 s37, -1
	s_mov_b32 s36, exec_lo
	s_delay_alu instid0(VALU_DEP_1) | instskip(NEXT) | instid1(VALU_DEP_1)
	v_and_b32_e32 v20, 31, v20
	v_lshl_add_u32 v21, v20, 2, v25
	ds_load_b32 v22, v21
                                        ; implicit-def: $vgpr21
	s_wait_dscnt 0x0
	v_cmpx_ne_u32_e32 -1, v22
	s_cbranch_execz .LBB40_43
; %bb.57:                               ;   in Loop: Header=BB40_50 Depth=3
	s_mov_b32 s37, 0
	s_mov_b32 s39, exec_lo
                                        ; implicit-def: $vgpr21
	v_cmpx_ne_u32_e64 v22, v11
	s_cbranch_execz .LBB40_42
; %bb.58:                               ;   in Loop: Header=BB40_50 Depth=3
	v_add_nc_u32_e32 v12, -4, v12
	v_add_nc_u32_e32 v21, 1, v20
	s_mov_b32 s37, exec_lo
	s_delay_alu instid0(VALU_DEP_2)
	v_cmp_eq_u32_e32 vcc_lo, 0, v12
	s_or_not1_b32 s38, vcc_lo, exec_lo
	s_branch .LBB40_42
.LBB40_59:                              ;   in Loop: Header=BB40_41 Depth=2
	s_or_b32 exec_lo, exec_lo, s23
	s_wait_alu 0xfffe
	s_xor_b32 s23, s24, -1
	s_delay_alu instid0(SALU_CYCLE_1)
	s_and_saveexec_b32 s24, s23
	s_wait_alu 0xfffe
	s_xor_b32 s23, exec_lo, s24
	s_cbranch_execz .LBB40_40
; %bb.60:                               ;   in Loop: Header=BB40_41 Depth=2
	v_lshl_add_u32 v11, v20, 2, v26
	v_lshlrev_b64_e32 v[20:21], 4, v[9:10]
	ds_load_b32 v11, v11
	v_add_co_u32 v20, vcc_lo, s8, v20
	s_wait_alu 0xfffd
	v_add_co_ci_u32_e64 v21, null, s9, v21, vcc_lo
	s_wait_dscnt 0x0
	v_ashrrev_i32_e32 v12, 31, v11
	s_delay_alu instid0(VALU_DEP_1) | instskip(NEXT) | instid1(VALU_DEP_1)
	v_lshlrev_b64_e32 v[10:11], 4, v[11:12]
	v_add_co_u32 v10, vcc_lo, s8, v10
	s_wait_alu 0xfffd
	s_delay_alu instid0(VALU_DEP_2)
	v_add_co_ci_u32_e64 v11, null, s9, v11, vcc_lo
	s_clause 0x1
	global_load_b128 v[20:23], v[20:21], off
	global_load_b128 v[29:32], v[10:11], off
	s_wait_loadcnt 0x0
	v_fma_f64 v[29:30], -v[5:6], v[20:21], v[29:30]
	v_fma_f64 v[31:32], -v[7:8], v[20:21], v[31:32]
	s_delay_alu instid0(VALU_DEP_2) | instskip(NEXT) | instid1(VALU_DEP_2)
	v_fma_f64 v[20:21], v[7:8], v[22:23], v[29:30]
	v_fma_f64 v[22:23], -v[5:6], v[22:23], v[31:32]
	global_store_b128 v[10:11], v[20:23], off
	s_branch .LBB40_40
.LBB40_61:
	s_wait_alu 0xfffe
	s_or_b32 exec_lo, exec_lo, s3
	s_delay_alu instid0(SALU_CYCLE_1)
	s_mov_b32 s3, exec_lo
	s_wait_loadcnt 0x0
	s_wait_storecnt 0x0
	global_inv scope:SCOPE_SE
	v_cmpx_lt_i32_e32 -1, v18
	s_cbranch_execz .LBB40_83
; %bb.62:
	v_mov_b32_e32 v19, 0
	s_mov_b32 s2, exec_lo
	s_delay_alu instid0(VALU_DEP_1) | instskip(NEXT) | instid1(VALU_DEP_1)
	v_lshlrev_b64_e32 v[5:6], 4, v[18:19]
	v_add_co_u32 v9, vcc_lo, s8, v5
	s_wait_alu 0xfffd
	s_delay_alu instid0(VALU_DEP_2)
	v_add_co_ci_u32_e64 v10, null, s9, v6, vcc_lo
	global_load_b128 v[5:8], v[9:10], off
	s_wait_loadcnt 0x0
	v_cmp_gt_f64_e32 vcc_lo, 0, v[5:6]
	v_xor_b32_e32 v12, 0x80000000, v6
	v_xor_b32_e32 v18, 0x80000000, v8
	v_dual_mov_b32 v11, v5 :: v_dual_mov_b32 v20, v7
	s_wait_alu 0xfffd
	s_delay_alu instid0(VALU_DEP_3) | instskip(SKIP_3) | instid1(VALU_DEP_1)
	v_cndmask_b32_e32 v12, v6, v12, vcc_lo
	v_cmp_gt_f64_e32 vcc_lo, 0, v[7:8]
	s_wait_alu 0xfffd
	v_cndmask_b32_e32 v21, v8, v18, vcc_lo
                                        ; implicit-def: $vgpr18_vgpr19
	v_cmpx_ngt_f64_e32 v[11:12], v[20:21]
	s_wait_alu 0xfffe
	s_xor_b32 s2, exec_lo, s2
	s_cbranch_execz .LBB40_66
; %bb.63:
	v_mov_b32_e32 v18, 0
	v_mov_b32_e32 v19, 0
	s_mov_b32 s4, exec_lo
	v_cmpx_neq_f64_e32 0, v[7:8]
	s_cbranch_execz .LBB40_65
; %bb.64:
	v_div_scale_f64 v[18:19], null, v[20:21], v[20:21], v[11:12]
	v_div_scale_f64 v[27:28], vcc_lo, v[11:12], v[20:21], v[11:12]
	s_delay_alu instid0(VALU_DEP_2) | instskip(NEXT) | instid1(TRANS32_DEP_1)
	v_rcp_f64_e32 v[22:23], v[18:19]
	v_fma_f64 v[25:26], -v[18:19], v[22:23], 1.0
	s_delay_alu instid0(VALU_DEP_1) | instskip(NEXT) | instid1(VALU_DEP_1)
	v_fma_f64 v[22:23], v[22:23], v[25:26], v[22:23]
	v_fma_f64 v[25:26], -v[18:19], v[22:23], 1.0
	s_delay_alu instid0(VALU_DEP_1) | instskip(NEXT) | instid1(VALU_DEP_1)
	v_fma_f64 v[22:23], v[22:23], v[25:26], v[22:23]
	v_mul_f64_e32 v[25:26], v[27:28], v[22:23]
	s_delay_alu instid0(VALU_DEP_1) | instskip(SKIP_1) | instid1(VALU_DEP_1)
	v_fma_f64 v[18:19], -v[18:19], v[25:26], v[27:28]
	s_wait_alu 0xfffd
	v_div_fmas_f64 v[18:19], v[18:19], v[22:23], v[25:26]
	s_delay_alu instid0(VALU_DEP_1) | instskip(NEXT) | instid1(VALU_DEP_1)
	v_div_fixup_f64 v[11:12], v[18:19], v[20:21], v[11:12]
	v_fma_f64 v[11:12], v[11:12], v[11:12], 1.0
	s_delay_alu instid0(VALU_DEP_1) | instskip(SKIP_2) | instid1(VALU_DEP_1)
	v_cmp_gt_f64_e32 vcc_lo, 0x10000000, v[11:12]
	s_wait_alu 0xfffd
	v_cndmask_b32_e64 v18, 0, 0x100, vcc_lo
	v_ldexp_f64 v[11:12], v[11:12], v18
	s_delay_alu instid0(VALU_DEP_1) | instskip(NEXT) | instid1(TRANS32_DEP_1)
	v_rsq_f64_e32 v[18:19], v[11:12]
	v_mul_f64_e32 v[22:23], v[11:12], v[18:19]
	v_mul_f64_e32 v[18:19], 0.5, v[18:19]
	s_delay_alu instid0(VALU_DEP_1) | instskip(NEXT) | instid1(VALU_DEP_1)
	v_fma_f64 v[25:26], -v[18:19], v[22:23], 0.5
	v_fma_f64 v[22:23], v[22:23], v[25:26], v[22:23]
	v_fma_f64 v[18:19], v[18:19], v[25:26], v[18:19]
	s_delay_alu instid0(VALU_DEP_2) | instskip(NEXT) | instid1(VALU_DEP_1)
	v_fma_f64 v[25:26], -v[22:23], v[22:23], v[11:12]
	v_fma_f64 v[22:23], v[25:26], v[18:19], v[22:23]
	s_delay_alu instid0(VALU_DEP_1) | instskip(NEXT) | instid1(VALU_DEP_1)
	v_fma_f64 v[25:26], -v[22:23], v[22:23], v[11:12]
	v_fma_f64 v[18:19], v[25:26], v[18:19], v[22:23]
	v_cndmask_b32_e64 v22, 0, 0xffffff80, vcc_lo
	v_cmp_class_f64_e64 vcc_lo, v[11:12], 0x260
	s_delay_alu instid0(VALU_DEP_2) | instskip(SKIP_1) | instid1(VALU_DEP_1)
	v_ldexp_f64 v[18:19], v[18:19], v22
	s_wait_alu 0xfffd
	v_dual_cndmask_b32 v12, v19, v12 :: v_dual_cndmask_b32 v11, v18, v11
	s_delay_alu instid0(VALU_DEP_1)
	v_mul_f64_e32 v[18:19], v[20:21], v[11:12]
.LBB40_65:
	s_wait_alu 0xfffe
	s_or_b32 exec_lo, exec_lo, s4
                                        ; implicit-def: $vgpr11_vgpr12
                                        ; implicit-def: $vgpr20_vgpr21
.LBB40_66:
	s_wait_alu 0xfffe
	s_and_not1_saveexec_b32 s2, s2
	s_cbranch_execz .LBB40_68
; %bb.67:
	v_div_scale_f64 v[18:19], null, v[11:12], v[11:12], v[20:21]
	v_div_scale_f64 v[27:28], vcc_lo, v[20:21], v[11:12], v[20:21]
	s_delay_alu instid0(VALU_DEP_2) | instskip(NEXT) | instid1(TRANS32_DEP_1)
	v_rcp_f64_e32 v[22:23], v[18:19]
	v_fma_f64 v[25:26], -v[18:19], v[22:23], 1.0
	s_delay_alu instid0(VALU_DEP_1) | instskip(NEXT) | instid1(VALU_DEP_1)
	v_fma_f64 v[22:23], v[22:23], v[25:26], v[22:23]
	v_fma_f64 v[25:26], -v[18:19], v[22:23], 1.0
	s_delay_alu instid0(VALU_DEP_1) | instskip(NEXT) | instid1(VALU_DEP_1)
	v_fma_f64 v[22:23], v[22:23], v[25:26], v[22:23]
	v_mul_f64_e32 v[25:26], v[27:28], v[22:23]
	s_delay_alu instid0(VALU_DEP_1) | instskip(SKIP_1) | instid1(VALU_DEP_1)
	v_fma_f64 v[18:19], -v[18:19], v[25:26], v[27:28]
	s_wait_alu 0xfffd
	v_div_fmas_f64 v[18:19], v[18:19], v[22:23], v[25:26]
	s_delay_alu instid0(VALU_DEP_1) | instskip(NEXT) | instid1(VALU_DEP_1)
	v_div_fixup_f64 v[18:19], v[18:19], v[11:12], v[20:21]
	v_fma_f64 v[18:19], v[18:19], v[18:19], 1.0
	s_delay_alu instid0(VALU_DEP_1) | instskip(SKIP_2) | instid1(VALU_DEP_1)
	v_cmp_gt_f64_e32 vcc_lo, 0x10000000, v[18:19]
	s_wait_alu 0xfffd
	v_cndmask_b32_e64 v20, 0, 0x100, vcc_lo
	v_ldexp_f64 v[18:19], v[18:19], v20
	s_delay_alu instid0(VALU_DEP_1) | instskip(NEXT) | instid1(TRANS32_DEP_1)
	v_rsq_f64_e32 v[20:21], v[18:19]
	v_mul_f64_e32 v[22:23], v[18:19], v[20:21]
	v_mul_f64_e32 v[20:21], 0.5, v[20:21]
	s_delay_alu instid0(VALU_DEP_1) | instskip(NEXT) | instid1(VALU_DEP_1)
	v_fma_f64 v[25:26], -v[20:21], v[22:23], 0.5
	v_fma_f64 v[22:23], v[22:23], v[25:26], v[22:23]
	v_fma_f64 v[20:21], v[20:21], v[25:26], v[20:21]
	s_delay_alu instid0(VALU_DEP_2) | instskip(NEXT) | instid1(VALU_DEP_1)
	v_fma_f64 v[25:26], -v[22:23], v[22:23], v[18:19]
	v_fma_f64 v[22:23], v[25:26], v[20:21], v[22:23]
	s_delay_alu instid0(VALU_DEP_1) | instskip(NEXT) | instid1(VALU_DEP_1)
	v_fma_f64 v[25:26], -v[22:23], v[22:23], v[18:19]
	v_fma_f64 v[20:21], v[25:26], v[20:21], v[22:23]
	v_cndmask_b32_e64 v22, 0, 0xffffff80, vcc_lo
	v_cmp_class_f64_e64 vcc_lo, v[18:19], 0x260
	s_delay_alu instid0(VALU_DEP_2) | instskip(SKIP_1) | instid1(VALU_DEP_1)
	v_ldexp_f64 v[20:21], v[20:21], v22
	s_wait_alu 0xfffd
	v_dual_cndmask_b32 v19, v21, v19 :: v_dual_cndmask_b32 v18, v20, v18
	s_delay_alu instid0(VALU_DEP_1)
	v_mul_f64_e32 v[18:19], v[11:12], v[18:19]
.LBB40_68:
	s_wait_alu 0xfffe
	s_or_b32 exec_lo, exec_lo, s2
	v_cmp_ne_u32_e32 vcc_lo, 1, v24
	v_cmp_eq_u32_e64 s2, 0, v0
	s_mov_b32 s4, -1
	s_cbranch_vccnz .LBB40_72
; %bb.69:
	v_cvt_f64_f32_e32 v[11:12], s29
	s_cmp_eq_u64 s[20:21], 8
	s_cselect_b32 vcc_lo, -1, 0
	s_wait_alu 0xfffe
	s_delay_alu instid0(VALU_DEP_1) | instskip(NEXT) | instid1(VALU_DEP_1)
	v_dual_cndmask_b32 v12, v12, v16 :: v_dual_cndmask_b32 v11, v11, v15
	v_cmp_le_f64_e32 vcc_lo, v[18:19], v[11:12]
	s_and_b32 s5, s2, vcc_lo
	s_wait_alu 0xfffe
	s_and_saveexec_b32 s4, s5
	s_cbranch_execz .LBB40_71
; %bb.70:
	global_store_b128 v[9:10], v[1:4], off
	s_wait_storecnt 0x0
	global_inv scope:SCOPE_DEV
.LBB40_71:
	s_wait_alu 0xfffe
	s_or_b32 exec_lo, exec_lo, s4
	s_mov_b32 s4, 0
.LBB40_72:
	s_wait_alu 0xfffe
	s_and_not1_b32 vcc_lo, exec_lo, s4
	s_wait_alu 0xfffe
	s_cbranch_vccnz .LBB40_83
; %bb.73:
	s_load_b64 s[0:1], s[0:1], 0x48
	v_add_nc_u32_e32 v1, s28, v17
	s_wait_kmcnt 0x0
	v_cmp_ge_f64_e32 vcc_lo, s[0:1], v[18:19]
	s_and_b32 s1, s2, vcc_lo
	s_wait_alu 0xfffe
	s_and_saveexec_b32 s0, s1
	s_cbranch_execz .LBB40_78
; %bb.74:
	s_mov_b32 s4, exec_lo
	s_brev_b32 s1, -2
.LBB40_75:                              ; =>This Inner Loop Header: Depth=1
	s_wait_alu 0xfffe
	s_ctz_i32_b32 s5, s4
	s_wait_alu 0xfffe
	v_readlane_b32 s6, v1, s5
	s_lshl_b32 s5, 1, s5
	s_wait_alu 0xfffe
	s_and_not1_b32 s4, s4, s5
	s_min_i32 s1, s1, s6
	s_wait_alu 0xfffe
	s_cmp_lg_u32 s4, 0
	s_cbranch_scc1 .LBB40_75
; %bb.76:
	v_mbcnt_lo_u32_b32 v2, exec_lo, 0
	s_mov_b32 s4, exec_lo
	s_delay_alu instid0(VALU_DEP_1)
	v_cmpx_eq_u32_e32 0, v2
	s_wait_alu 0xfffe
	s_xor_b32 s4, exec_lo, s4
	s_cbranch_execz .LBB40_78
; %bb.77:
	v_dual_mov_b32 v2, 0 :: v_dual_mov_b32 v3, s1
	global_atomic_min_i32 v2, v3, s[18:19] scope:SCOPE_DEV
.LBB40_78:
	s_wait_alu 0xfffe
	s_or_b32 exec_lo, exec_lo, s0
	v_cmp_eq_f64_e32 vcc_lo, 0, v[5:6]
	v_cmp_eq_f64_e64 s0, 0, v[7:8]
	s_and_b32 s0, vcc_lo, s0
	s_wait_alu 0xfffe
	s_and_b32 s0, s2, s0
	s_wait_alu 0xfffe
	s_and_b32 exec_lo, exec_lo, s0
	s_cbranch_execz .LBB40_83
; %bb.79:
	s_mov_b32 s1, exec_lo
	s_brev_b32 s0, -2
.LBB40_80:                              ; =>This Inner Loop Header: Depth=1
	s_wait_alu 0xfffe
	s_ctz_i32_b32 s2, s1
	s_wait_alu 0xfffe
	v_readlane_b32 s4, v1, s2
	s_lshl_b32 s2, 1, s2
	s_wait_alu 0xfffe
	s_and_not1_b32 s1, s1, s2
	s_min_i32 s0, s0, s4
	s_wait_alu 0xfffe
	s_cmp_lg_u32 s1, 0
	s_cbranch_scc1 .LBB40_80
; %bb.81:
	v_mbcnt_lo_u32_b32 v1, exec_lo, 0
	s_mov_b32 s1, exec_lo
	s_delay_alu instid0(VALU_DEP_1)
	v_cmpx_eq_u32_e32 0, v1
	s_wait_alu 0xfffe
	s_xor_b32 s1, exec_lo, s1
	s_cbranch_execz .LBB40_83
; %bb.82:
	v_dual_mov_b32 v1, 0 :: v_dual_mov_b32 v2, s0
	global_atomic_min_i32 v1, v2, s[16:17] scope:SCOPE_DEV
.LBB40_83:
	s_wait_alu 0xfffe
	s_or_b32 exec_lo, exec_lo, s3
	v_cmp_eq_u32_e32 vcc_lo, 0, v0
	s_wait_loadcnt 0x0
	s_wait_storecnt 0x0
	global_inv scope:SCOPE_DEV
	s_and_b32 exec_lo, exec_lo, vcc_lo
	s_cbranch_execz .LBB40_85
; %bb.84:
	v_add_co_u32 v0, vcc_lo, s12, v13
	s_wait_alu 0xfffd
	v_add_co_ci_u32_e64 v1, null, s13, v14, vcc_lo
	v_mov_b32_e32 v2, 1
	s_wait_loadcnt 0x0
	global_store_b32 v[0:1], v2, off scope:SCOPE_DEV
.LBB40_85:
	s_endpgm
	.section	.rodata,"a",@progbits
	.p2align	6, 0x0
	.amdhsa_kernel _ZN9rocsparseL12csrilu0_hashILj256ELj32ELj1E21rocsparse_complex_numIdEEEviPKiS4_PT2_S4_PiS4_S7_S7_d21rocsparse_index_base_imNS_24const_host_device_scalarIfEENS9_IdEENS9_IS5_EEb
		.amdhsa_group_segment_fixed_size 2048
		.amdhsa_private_segment_fixed_size 16
		.amdhsa_kernarg_size 132
		.amdhsa_user_sgpr_count 2
		.amdhsa_user_sgpr_dispatch_ptr 0
		.amdhsa_user_sgpr_queue_ptr 0
		.amdhsa_user_sgpr_kernarg_segment_ptr 1
		.amdhsa_user_sgpr_dispatch_id 0
		.amdhsa_user_sgpr_private_segment_size 0
		.amdhsa_wavefront_size32 1
		.amdhsa_uses_dynamic_stack 0
		.amdhsa_enable_private_segment 1
		.amdhsa_system_sgpr_workgroup_id_x 1
		.amdhsa_system_sgpr_workgroup_id_y 0
		.amdhsa_system_sgpr_workgroup_id_z 0
		.amdhsa_system_sgpr_workgroup_info 0
		.amdhsa_system_vgpr_workitem_id 0
		.amdhsa_next_free_vgpr 39
		.amdhsa_next_free_sgpr 40
		.amdhsa_reserve_vcc 1
		.amdhsa_float_round_mode_32 0
		.amdhsa_float_round_mode_16_64 0
		.amdhsa_float_denorm_mode_32 3
		.amdhsa_float_denorm_mode_16_64 3
		.amdhsa_fp16_overflow 0
		.amdhsa_workgroup_processor_mode 1
		.amdhsa_memory_ordered 1
		.amdhsa_forward_progress 1
		.amdhsa_inst_pref_size 32
		.amdhsa_round_robin_scheduling 0
		.amdhsa_exception_fp_ieee_invalid_op 0
		.amdhsa_exception_fp_denorm_src 0
		.amdhsa_exception_fp_ieee_div_zero 0
		.amdhsa_exception_fp_ieee_overflow 0
		.amdhsa_exception_fp_ieee_underflow 0
		.amdhsa_exception_fp_ieee_inexact 0
		.amdhsa_exception_int_div_zero 0
	.end_amdhsa_kernel
	.section	.text._ZN9rocsparseL12csrilu0_hashILj256ELj32ELj1E21rocsparse_complex_numIdEEEviPKiS4_PT2_S4_PiS4_S7_S7_d21rocsparse_index_base_imNS_24const_host_device_scalarIfEENS9_IdEENS9_IS5_EEb,"axG",@progbits,_ZN9rocsparseL12csrilu0_hashILj256ELj32ELj1E21rocsparse_complex_numIdEEEviPKiS4_PT2_S4_PiS4_S7_S7_d21rocsparse_index_base_imNS_24const_host_device_scalarIfEENS9_IdEENS9_IS5_EEb,comdat
.Lfunc_end40:
	.size	_ZN9rocsparseL12csrilu0_hashILj256ELj32ELj1E21rocsparse_complex_numIdEEEviPKiS4_PT2_S4_PiS4_S7_S7_d21rocsparse_index_base_imNS_24const_host_device_scalarIfEENS9_IdEENS9_IS5_EEb, .Lfunc_end40-_ZN9rocsparseL12csrilu0_hashILj256ELj32ELj1E21rocsparse_complex_numIdEEEviPKiS4_PT2_S4_PiS4_S7_S7_d21rocsparse_index_base_imNS_24const_host_device_scalarIfEENS9_IdEENS9_IS5_EEb
                                        ; -- End function
	.set _ZN9rocsparseL12csrilu0_hashILj256ELj32ELj1E21rocsparse_complex_numIdEEEviPKiS4_PT2_S4_PiS4_S7_S7_d21rocsparse_index_base_imNS_24const_host_device_scalarIfEENS9_IdEENS9_IS5_EEb.num_vgpr, 39
	.set _ZN9rocsparseL12csrilu0_hashILj256ELj32ELj1E21rocsparse_complex_numIdEEEviPKiS4_PT2_S4_PiS4_S7_S7_d21rocsparse_index_base_imNS_24const_host_device_scalarIfEENS9_IdEENS9_IS5_EEb.num_agpr, 0
	.set _ZN9rocsparseL12csrilu0_hashILj256ELj32ELj1E21rocsparse_complex_numIdEEEviPKiS4_PT2_S4_PiS4_S7_S7_d21rocsparse_index_base_imNS_24const_host_device_scalarIfEENS9_IdEENS9_IS5_EEb.numbered_sgpr, 40
	.set _ZN9rocsparseL12csrilu0_hashILj256ELj32ELj1E21rocsparse_complex_numIdEEEviPKiS4_PT2_S4_PiS4_S7_S7_d21rocsparse_index_base_imNS_24const_host_device_scalarIfEENS9_IdEENS9_IS5_EEb.num_named_barrier, 0
	.set _ZN9rocsparseL12csrilu0_hashILj256ELj32ELj1E21rocsparse_complex_numIdEEEviPKiS4_PT2_S4_PiS4_S7_S7_d21rocsparse_index_base_imNS_24const_host_device_scalarIfEENS9_IdEENS9_IS5_EEb.private_seg_size, 16
	.set _ZN9rocsparseL12csrilu0_hashILj256ELj32ELj1E21rocsparse_complex_numIdEEEviPKiS4_PT2_S4_PiS4_S7_S7_d21rocsparse_index_base_imNS_24const_host_device_scalarIfEENS9_IdEENS9_IS5_EEb.uses_vcc, 1
	.set _ZN9rocsparseL12csrilu0_hashILj256ELj32ELj1E21rocsparse_complex_numIdEEEviPKiS4_PT2_S4_PiS4_S7_S7_d21rocsparse_index_base_imNS_24const_host_device_scalarIfEENS9_IdEENS9_IS5_EEb.uses_flat_scratch, 0
	.set _ZN9rocsparseL12csrilu0_hashILj256ELj32ELj1E21rocsparse_complex_numIdEEEviPKiS4_PT2_S4_PiS4_S7_S7_d21rocsparse_index_base_imNS_24const_host_device_scalarIfEENS9_IdEENS9_IS5_EEb.has_dyn_sized_stack, 0
	.set _ZN9rocsparseL12csrilu0_hashILj256ELj32ELj1E21rocsparse_complex_numIdEEEviPKiS4_PT2_S4_PiS4_S7_S7_d21rocsparse_index_base_imNS_24const_host_device_scalarIfEENS9_IdEENS9_IS5_EEb.has_recursion, 0
	.set _ZN9rocsparseL12csrilu0_hashILj256ELj32ELj1E21rocsparse_complex_numIdEEEviPKiS4_PT2_S4_PiS4_S7_S7_d21rocsparse_index_base_imNS_24const_host_device_scalarIfEENS9_IdEENS9_IS5_EEb.has_indirect_call, 0
	.section	.AMDGPU.csdata,"",@progbits
; Kernel info:
; codeLenInByte = 4012
; TotalNumSgprs: 42
; NumVgprs: 39
; ScratchSize: 16
; MemoryBound: 0
; FloatMode: 240
; IeeeMode: 1
; LDSByteSize: 2048 bytes/workgroup (compile time only)
; SGPRBlocks: 0
; VGPRBlocks: 4
; NumSGPRsForWavesPerEU: 42
; NumVGPRsForWavesPerEU: 39
; Occupancy: 16
; WaveLimiterHint : 1
; COMPUTE_PGM_RSRC2:SCRATCH_EN: 1
; COMPUTE_PGM_RSRC2:USER_SGPR: 2
; COMPUTE_PGM_RSRC2:TRAP_HANDLER: 0
; COMPUTE_PGM_RSRC2:TGID_X_EN: 1
; COMPUTE_PGM_RSRC2:TGID_Y_EN: 0
; COMPUTE_PGM_RSRC2:TGID_Z_EN: 0
; COMPUTE_PGM_RSRC2:TIDIG_COMP_CNT: 0
	.section	.text._ZN9rocsparseL12csrilu0_hashILj256ELj32ELj2E21rocsparse_complex_numIdEEEviPKiS4_PT2_S4_PiS4_S7_S7_d21rocsparse_index_base_imNS_24const_host_device_scalarIfEENS9_IdEENS9_IS5_EEb,"axG",@progbits,_ZN9rocsparseL12csrilu0_hashILj256ELj32ELj2E21rocsparse_complex_numIdEEEviPKiS4_PT2_S4_PiS4_S7_S7_d21rocsparse_index_base_imNS_24const_host_device_scalarIfEENS9_IdEENS9_IS5_EEb,comdat
	.globl	_ZN9rocsparseL12csrilu0_hashILj256ELj32ELj2E21rocsparse_complex_numIdEEEviPKiS4_PT2_S4_PiS4_S7_S7_d21rocsparse_index_base_imNS_24const_host_device_scalarIfEENS9_IdEENS9_IS5_EEb ; -- Begin function _ZN9rocsparseL12csrilu0_hashILj256ELj32ELj2E21rocsparse_complex_numIdEEEviPKiS4_PT2_S4_PiS4_S7_S7_d21rocsparse_index_base_imNS_24const_host_device_scalarIfEENS9_IdEENS9_IS5_EEb
	.p2align	8
	.type	_ZN9rocsparseL12csrilu0_hashILj256ELj32ELj2E21rocsparse_complex_numIdEEEviPKiS4_PT2_S4_PiS4_S7_S7_d21rocsparse_index_base_imNS_24const_host_device_scalarIfEENS9_IdEENS9_IS5_EEb,@function
_ZN9rocsparseL12csrilu0_hashILj256ELj32ELj2E21rocsparse_complex_numIdEEEviPKiS4_PT2_S4_PiS4_S7_S7_d21rocsparse_index_base_imNS_24const_host_device_scalarIfEENS9_IdEENS9_IS5_EEb: ; @_ZN9rocsparseL12csrilu0_hashILj256ELj32ELj2E21rocsparse_complex_numIdEEEviPKiS4_PT2_S4_PiS4_S7_S7_d21rocsparse_index_base_imNS_24const_host_device_scalarIfEENS9_IdEENS9_IS5_EEb
; %bb.0:
	s_clause 0x2
	s_load_b96 s[4:6], s[0:1], 0x78
	s_load_b64 s[28:29], s[0:1], 0x50
	s_load_b256 s[20:27], s[0:1], 0x58
	s_wait_kmcnt 0x0
	s_bitcmp1_b32 s6, 0
	s_cselect_b32 s6, -1, 0
	s_cmp_eq_u32 s29, 0
	v_dual_mov_b32 v1, s26 :: v_dual_mov_b32 v2, s27
	s_cselect_b32 s2, -1, 0
	s_cmp_lg_u32 s29, 0
	s_cselect_b32 s7, -1, 0
	s_or_b32 s9, s2, s6
	scratch_store_b64 off, v[1:2], off
	s_xor_b32 s8, s9, -1
	s_and_b32 s2, s2, exec_lo
	s_cselect_b32 s3, 0, s25
	s_cselect_b32 s2, 0, s24
	;; [unrolled: 1-line block ×3, first 2 shown]
	s_and_b32 vcc_lo, exec_lo, s9
	s_cbranch_vccnz .LBB41_2
; %bb.1:
	s_load_b32 s29, s[22:23], 0x0
	s_mov_b64 s[2:3], s[24:25]
.LBB41_2:
	s_delay_alu instid0(SALU_CYCLE_1)
	v_dual_mov_b32 v16, s3 :: v_dual_mov_b32 v15, s2
	s_and_not1_b32 vcc_lo, exec_lo, s8
	s_cbranch_vccnz .LBB41_4
; %bb.3:
	v_dual_mov_b32 v1, s24 :: v_dual_mov_b32 v2, s25
	flat_load_b64 v[15:16], v[1:2]
.LBB41_4:
	v_mov_b32_e32 v3, 0
	v_dual_mov_b32 v4, 0 :: v_dual_mov_b32 v1, 0
	v_cndmask_b32_e64 v25, 0, 1, s7
	v_mov_b32_e32 v2, 0
	s_and_not1_b32 vcc_lo, exec_lo, s7
	s_cbranch_vccnz .LBB41_7
; %bb.5:
	s_mov_b64 s[2:3], src_private_base
	s_xor_b32 s2, s6, -1
	s_and_b32 s6, s6, exec_lo
	s_cselect_b32 s6, 0, s26
	s_wait_alu 0xfffe
	s_cselect_b32 s3, s3, s27
	s_wait_alu 0xfffe
	v_dual_mov_b32 v1, s6 :: v_dual_mov_b32 v2, s3
	v_dual_mov_b32 v3, s4 :: v_dual_mov_b32 v4, s5
	s_and_not1_b32 vcc_lo, exec_lo, s2
	flat_load_b64 v[1:2], v[1:2]
	s_cbranch_vccnz .LBB41_7
; %bb.6:
	v_dual_mov_b32 v3, s26 :: v_dual_mov_b32 v4, s27
	flat_load_b64 v[3:4], v[3:4] offset:8
.LBB41_7:
	v_lshrrev_b32_e32 v5, 5, v0
	v_and_b32_e32 v24, 31, v0
	s_mov_b32 s2, 0
	s_delay_alu instid0(VALU_DEP_2) | instskip(NEXT) | instid1(VALU_DEP_2)
	v_lshlrev_b32_e32 v7, 8, v5
	v_lshlrev_b32_e32 v8, 2, v24
	v_or_b32_e32 v6, 0xffffffe0, v24
	s_delay_alu instid0(VALU_DEP_2)
	v_or3_b32 v7, v7, v8, 0x800
	v_mov_b32_e32 v8, -1
.LBB41_8:                               ; =>This Inner Loop Header: Depth=1
	s_delay_alu instid0(VALU_DEP_3)
	v_add_co_u32 v6, s3, v6, 32
	s_xor_b32 s3, s3, -1
	ds_store_b32 v7, v8
	v_add_nc_u32_e32 v7, 0x80, v7
	s_wait_alu 0xfffe
	s_and_b32 s3, exec_lo, s3
	s_wait_alu 0xfffe
	s_or_b32 s2, s3, s2
	s_wait_alu 0xfffe
	s_and_not1_b32 exec_lo, exec_lo, s2
	s_cbranch_execnz .LBB41_8
; %bb.9:
	s_or_b32 exec_lo, exec_lo, s2
	s_load_b32 s2, s[0:1], 0x0
	s_lshl_b32 s3, ttmp9, 3
	s_wait_storecnt 0x0
	s_wait_loadcnt_dscnt 0x0
	global_inv scope:SCOPE_SE
	s_wait_alu 0xfffe
	v_and_or_b32 v5, 0x7fffff8, s3, v5
	s_wait_kmcnt 0x0
	s_delay_alu instid0(VALU_DEP_1)
	v_cmp_gt_i32_e32 vcc_lo, s2, v5
	s_and_saveexec_b32 s2, vcc_lo
	s_cbranch_execz .LBB41_87
; %bb.10:
	s_load_b512 s[4:19], s[0:1], 0x8
	v_lshlrev_b32_e32 v5, 2, v5
	v_lshlrev_b32_e32 v0, 3, v0
	s_mov_b32 s2, exec_lo
	s_delay_alu instid0(VALU_DEP_1) | instskip(NEXT) | instid1(VALU_DEP_1)
	v_and_b32_e32 v0, 0x700, v0
	v_or_b32_e32 v26, 0x800, v0
	s_wait_kmcnt 0x0
	global_load_b32 v17, v5, s[14:15]
	s_wait_loadcnt 0x0
	v_ashrrev_i32_e32 v18, 31, v17
	s_delay_alu instid0(VALU_DEP_1) | instskip(NEXT) | instid1(VALU_DEP_1)
	v_lshlrev_b64_e32 v[13:14], 2, v[17:18]
	v_add_co_u32 v5, vcc_lo, s4, v13
	s_delay_alu instid0(VALU_DEP_1)
	v_add_co_ci_u32_e64 v6, null, s5, v14, vcc_lo
	v_add_co_u32 v7, vcc_lo, s10, v13
	s_wait_alu 0xfffd
	v_add_co_ci_u32_e64 v8, null, s11, v14, vcc_lo
	global_load_b64 v[5:6], v[5:6], off
	global_load_b32 v18, v[7:8], off
	s_wait_loadcnt 0x1
	v_subrev_nc_u32_e32 v19, s28, v5
	v_subrev_nc_u32_e32 v7, s28, v6
	s_delay_alu instid0(VALU_DEP_2) | instskip(NEXT) | instid1(VALU_DEP_1)
	v_add_nc_u32_e32 v5, v19, v24
	v_cmpx_lt_i32_e64 v5, v7
	s_cbranch_execz .LBB41_33
; %bb.11:
	v_mov_b32_e32 v8, -1
	s_mov_b32 s3, 0
	s_branch .LBB41_13
.LBB41_12:                              ;   in Loop: Header=BB41_13 Depth=1
	s_or_b32 exec_lo, exec_lo, s14
	v_add_nc_u32_e32 v5, 32, v5
	s_delay_alu instid0(VALU_DEP_1)
	v_cmp_ge_i32_e32 vcc_lo, v5, v7
	s_or_b32 s3, vcc_lo, s3
	s_wait_alu 0xfffe
	s_and_not1_b32 exec_lo, exec_lo, s3
	s_cbranch_execz .LBB41_33
.LBB41_13:                              ; =>This Loop Header: Depth=1
                                        ;     Child Loop BB41_22 Depth 2
	v_ashrrev_i32_e32 v6, 31, v5
	s_mov_b32 s14, 0
                                        ; implicit-def: $sgpr15
                                        ; implicit-def: $sgpr22
                                        ; implicit-def: $sgpr23
	s_delay_alu instid0(VALU_DEP_1) | instskip(NEXT) | instid1(VALU_DEP_1)
	v_lshlrev_b64_e32 v[9:10], 2, v[5:6]
	v_add_co_u32 v9, vcc_lo, s6, v9
	s_wait_alu 0xfffd
	s_delay_alu instid0(VALU_DEP_2)
	v_add_co_ci_u32_e64 v10, null, s7, v10, vcc_lo
	global_load_b32 v6, v[9:10], off
	v_mov_b32_e32 v9, 64
	s_wait_loadcnt 0x0
	v_mul_lo_u32 v11, v6, 39
	s_branch .LBB41_22
.LBB41_14:                              ;   in Loop: Header=BB41_22 Depth=2
	s_or_b32 exec_lo, exec_lo, s36
	s_delay_alu instid0(SALU_CYCLE_1)
	s_or_not1_b32 s34, s34, exec_lo
	s_or_not1_b32 s35, s35, exec_lo
.LBB41_15:                              ;   in Loop: Header=BB41_22 Depth=2
	s_or_b32 exec_lo, exec_lo, s33
	s_delay_alu instid0(SALU_CYCLE_1)
	s_and_b32 s34, s34, exec_lo
	s_or_not1_b32 s33, s35, exec_lo
.LBB41_16:                              ;   in Loop: Header=BB41_22 Depth=2
	s_or_b32 exec_lo, exec_lo, s31
	s_delay_alu instid0(SALU_CYCLE_1)
	s_or_not1_b32 s31, s34, exec_lo
	s_or_not1_b32 s33, s33, exec_lo
.LBB41_17:                              ;   in Loop: Header=BB41_22 Depth=2
	s_or_b32 exec_lo, exec_lo, s30
	s_delay_alu instid0(SALU_CYCLE_1)
	s_and_b32 s31, s31, exec_lo
	s_or_not1_b32 s30, s33, exec_lo
.LBB41_18:                              ;   in Loop: Header=BB41_22 Depth=2
	s_wait_alu 0xfffe
	s_or_b32 exec_lo, exec_lo, s27
	s_delay_alu instid0(SALU_CYCLE_1)
	s_or_not1_b32 s27, s31, exec_lo
	s_or_not1_b32 s30, s30, exec_lo
.LBB41_19:                              ;   in Loop: Header=BB41_22 Depth=2
	s_wait_alu 0xfffe
	s_or_b32 exec_lo, exec_lo, s26
	s_delay_alu instid0(SALU_CYCLE_1)
	s_and_b32 s27, s27, exec_lo
	s_or_not1_b32 s26, s30, exec_lo
.LBB41_20:                              ;   in Loop: Header=BB41_22 Depth=2
	s_wait_alu 0xfffe
	s_or_b32 exec_lo, exec_lo, s25
	s_delay_alu instid0(SALU_CYCLE_1)
	s_and_not1_b32 s23, s23, exec_lo
	s_and_b32 s25, s27, exec_lo
	s_and_not1_b32 s22, s22, exec_lo
	s_and_b32 s26, s26, exec_lo
	s_wait_alu 0xfffe
	s_or_b32 s23, s23, s25
	s_or_b32 s22, s22, s26
.LBB41_21:                              ;   in Loop: Header=BB41_22 Depth=2
	s_wait_alu 0xfffe
	s_or_b32 exec_lo, exec_lo, s24
	s_delay_alu instid0(SALU_CYCLE_1)
	s_and_b32 s24, exec_lo, s22
	s_wait_alu 0xfffe
	s_or_b32 s14, s24, s14
	s_and_not1_b32 s15, s15, exec_lo
	s_and_b32 s24, s23, exec_lo
	s_wait_alu 0xfffe
	s_or_b32 s15, s15, s24
	s_and_not1_b32 exec_lo, exec_lo, s14
	s_cbranch_execz .LBB41_31
.LBB41_22:                              ;   Parent Loop BB41_13 Depth=1
                                        ; =>  This Inner Loop Header: Depth=2
	s_delay_alu instid0(VALU_DEP_1) | instskip(SKIP_3) | instid1(VALU_DEP_1)
	v_and_b32_e32 v10, 63, v11
	s_or_b32 s23, s23, exec_lo
	s_or_b32 s22, s22, exec_lo
	s_mov_b32 s24, exec_lo
	v_lshl_add_u32 v12, v10, 2, v26
	ds_load_b32 v20, v12
	s_wait_dscnt 0x0
	v_cmpx_ne_u32_e64 v20, v6
	s_cbranch_execz .LBB41_21
; %bb.23:                               ;   in Loop: Header=BB41_22 Depth=2
	ds_cmpstore_rtn_b32 v12, v12, v6, v8
	s_mov_b32 s26, -1
	s_mov_b32 s27, 0
	s_mov_b32 s25, exec_lo
	s_wait_dscnt 0x0
	v_cmpx_ne_u32_e32 -1, v12
	s_cbranch_execz .LBB41_20
; %bb.24:                               ;   in Loop: Header=BB41_22 Depth=2
	v_add_nc_u32_e32 v10, 1, v11
	s_mov_b32 s30, -1
	s_mov_b32 s27, -1
	s_mov_b32 s26, exec_lo
	s_delay_alu instid0(VALU_DEP_1) | instskip(NEXT) | instid1(VALU_DEP_1)
	v_and_b32_e32 v10, 63, v10
	v_lshl_add_u32 v12, v10, 2, v26
	ds_load_b32 v20, v12
	s_wait_dscnt 0x0
	v_cmpx_ne_u32_e64 v20, v6
	s_cbranch_execz .LBB41_19
; %bb.25:                               ;   in Loop: Header=BB41_22 Depth=2
	ds_cmpstore_rtn_b32 v12, v12, v6, v8
	s_mov_b32 s31, 0
	s_mov_b32 s27, exec_lo
	s_wait_dscnt 0x0
	v_cmpx_ne_u32_e32 -1, v12
	s_cbranch_execz .LBB41_18
; %bb.26:                               ;   in Loop: Header=BB41_22 Depth=2
	v_add_nc_u32_e32 v10, 2, v11
	s_mov_b32 s33, -1
	s_mov_b32 s31, -1
	s_mov_b32 s30, exec_lo
	s_delay_alu instid0(VALU_DEP_1) | instskip(NEXT) | instid1(VALU_DEP_1)
	v_and_b32_e32 v10, 63, v10
	v_lshl_add_u32 v12, v10, 2, v26
	ds_load_b32 v20, v12
	s_wait_dscnt 0x0
	v_cmpx_ne_u32_e64 v20, v6
	s_cbranch_execz .LBB41_17
; %bb.27:                               ;   in Loop: Header=BB41_22 Depth=2
	ds_cmpstore_rtn_b32 v12, v12, v6, v8
	s_mov_b32 s34, 0
	s_mov_b32 s31, exec_lo
	s_wait_dscnt 0x0
	v_cmpx_ne_u32_e32 -1, v12
	s_cbranch_execz .LBB41_16
; %bb.28:                               ;   in Loop: Header=BB41_22 Depth=2
	v_add_nc_u32_e32 v10, 3, v11
	s_mov_b32 s35, -1
	s_mov_b32 s34, -1
	s_delay_alu instid0(VALU_DEP_1) | instskip(NEXT) | instid1(VALU_DEP_1)
	v_and_b32_e32 v10, 63, v10
	v_lshl_add_u32 v12, v10, 2, v26
	ds_load_b32 v11, v12
	s_wait_dscnt 0x0
	v_cmp_ne_u32_e32 vcc_lo, v11, v6
                                        ; implicit-def: $vgpr11
	s_and_saveexec_b32 s33, vcc_lo
	s_cbranch_execz .LBB41_15
; %bb.29:                               ;   in Loop: Header=BB41_22 Depth=2
	ds_cmpstore_rtn_b32 v11, v12, v6, v8
	s_mov_b32 s34, 0
	s_wait_dscnt 0x0
	v_cmp_ne_u32_e32 vcc_lo, -1, v11
                                        ; implicit-def: $vgpr11
	s_and_saveexec_b32 s36, vcc_lo
	s_cbranch_execz .LBB41_14
; %bb.30:                               ;   in Loop: Header=BB41_22 Depth=2
	v_add_nc_u32_e32 v9, -4, v9
	v_add_nc_u32_e32 v11, 1, v10
	s_mov_b32 s34, exec_lo
	s_delay_alu instid0(VALU_DEP_2)
	v_cmp_eq_u32_e32 vcc_lo, 0, v9
	s_or_not1_b32 s35, vcc_lo, exec_lo
	s_branch .LBB41_14
.LBB41_31:                              ;   in Loop: Header=BB41_13 Depth=1
	s_or_b32 exec_lo, exec_lo, s14
	s_xor_b32 s14, s15, -1
	s_delay_alu instid0(SALU_CYCLE_1) | instskip(NEXT) | instid1(SALU_CYCLE_1)
	s_and_saveexec_b32 s15, s14
	s_xor_b32 s14, exec_lo, s15
	s_cbranch_execz .LBB41_12
; %bb.32:                               ;   in Loop: Header=BB41_13 Depth=1
	v_lshl_add_u32 v6, v10, 2, v0
	ds_store_b32 v6, v5
	s_branch .LBB41_12
.LBB41_33:
	s_wait_alu 0xfffe
	s_or_b32 exec_lo, exec_lo, s2
	s_delay_alu instid0(SALU_CYCLE_1)
	s_mov_b32 s3, exec_lo
	s_wait_loadcnt_dscnt 0x0
	global_inv scope:SCOPE_SE
	v_cmpx_lt_i32_e64 v19, v18
	s_cbranch_execz .LBB41_63
; %bb.34:
	v_add_nc_u32_e32 v27, 1, v24
	s_mov_b32 s14, 0
	s_branch .LBB41_37
.LBB41_35:                              ;   in Loop: Header=BB41_37 Depth=1
	s_or_b32 exec_lo, exec_lo, s15
	v_add_nc_u32_e32 v19, 1, v19
	s_delay_alu instid0(VALU_DEP_1)
	v_cmp_ge_i32_e32 vcc_lo, v19, v18
	s_or_not1_b32 s15, vcc_lo, exec_lo
.LBB41_36:                              ;   in Loop: Header=BB41_37 Depth=1
	s_wait_alu 0xfffe
	s_or_b32 exec_lo, exec_lo, s2
	s_delay_alu instid0(SALU_CYCLE_1) | instskip(SKIP_2) | instid1(SALU_CYCLE_1)
	s_and_b32 s2, exec_lo, s15
	s_wait_alu 0xfffe
	s_or_b32 s14, s2, s14
	s_and_not1_b32 exec_lo, exec_lo, s14
	s_cbranch_execz .LBB41_63
.LBB41_37:                              ; =>This Loop Header: Depth=1
                                        ;     Child Loop BB41_38 Depth 2
                                        ;     Child Loop BB41_43 Depth 2
                                        ;       Child Loop BB41_52 Depth 3
	v_ashrrev_i32_e32 v20, 31, v19
	s_mov_b32 s2, 0
	s_delay_alu instid0(VALU_DEP_1) | instskip(SKIP_1) | instid1(VALU_DEP_2)
	v_lshlrev_b64_e32 v[5:6], 2, v[19:20]
	v_lshlrev_b64_e32 v[7:8], 4, v[19:20]
	v_add_co_u32 v5, vcc_lo, s6, v5
	s_wait_alu 0xfffd
	s_delay_alu instid0(VALU_DEP_3) | instskip(NEXT) | instid1(VALU_DEP_3)
	v_add_co_ci_u32_e64 v6, null, s7, v6, vcc_lo
	v_add_co_u32 v20, vcc_lo, s8, v7
	s_wait_alu 0xfffd
	v_add_co_ci_u32_e64 v21, null, s9, v8, vcc_lo
	global_load_b32 v5, v[5:6], off
	s_wait_loadcnt 0x0
	v_subrev_nc_u32_e32 v5, s28, v5
	s_delay_alu instid0(VALU_DEP_1) | instskip(NEXT) | instid1(VALU_DEP_1)
	v_ashrrev_i32_e32 v6, 31, v5
	v_lshlrev_b64_e32 v[9:10], 2, v[5:6]
	s_delay_alu instid0(VALU_DEP_1) | instskip(SKIP_1) | instid1(VALU_DEP_2)
	v_add_co_u32 v11, vcc_lo, s4, v9
	s_wait_alu 0xfffd
	v_add_co_ci_u32_e64 v12, null, s5, v10, vcc_lo
	v_add_co_u32 v22, vcc_lo, s10, v9
	s_wait_alu 0xfffd
	v_add_co_ci_u32_e64 v23, null, s11, v10, vcc_lo
	global_load_b128 v[5:8], v[20:21], off
	global_load_b32 v11, v[11:12], off offset:4
	global_load_b32 v12, v[22:23], off
	v_add_co_u32 v9, vcc_lo, s12, v9
	s_wait_alu 0xfffd
	v_add_co_ci_u32_e64 v10, null, s13, v10, vcc_lo
.LBB41_38:                              ;   Parent Loop BB41_37 Depth=1
                                        ; =>  This Inner Loop Header: Depth=2
	global_load_b32 v22, v[9:10], off scope:SCOPE_DEV
	s_wait_loadcnt 0x0
	v_cmp_ne_u32_e32 vcc_lo, 0, v22
	s_wait_alu 0xfffe
	s_or_b32 s2, vcc_lo, s2
	s_wait_alu 0xfffe
	s_and_not1_b32 exec_lo, exec_lo, s2
	s_cbranch_execnz .LBB41_38
; %bb.39:                               ;   in Loop: Header=BB41_37 Depth=1
	s_or_b32 exec_lo, exec_lo, s2
	v_subrev_nc_u32_e32 v28, s28, v11
	v_cmp_eq_u32_e32 vcc_lo, -1, v12
	global_inv scope:SCOPE_DEV
	s_mov_b32 s15, -1
	v_add_nc_u32_e32 v9, -1, v28
	s_wait_alu 0xfffd
	s_delay_alu instid0(VALU_DEP_1) | instskip(NEXT) | instid1(VALU_DEP_1)
	v_cndmask_b32_e32 v22, v12, v9, vcc_lo
	v_ashrrev_i32_e32 v23, 31, v22
	s_delay_alu instid0(VALU_DEP_1) | instskip(NEXT) | instid1(VALU_DEP_1)
	v_lshlrev_b64_e32 v[9:10], 4, v[22:23]
	v_add_co_u32 v9, vcc_lo, s8, v9
	s_wait_alu 0xfffd
	s_delay_alu instid0(VALU_DEP_2)
	v_add_co_ci_u32_e64 v10, null, s9, v10, vcc_lo
	global_load_b128 v[9:12], v[9:10], off
	s_wait_loadcnt 0x0
	v_cmp_neq_f64_e32 vcc_lo, 0, v[9:10]
	v_cmp_neq_f64_e64 s2, 0, v[11:12]
	s_or_b32 s22, vcc_lo, s2
	s_delay_alu instid0(SALU_CYCLE_1)
	s_and_saveexec_b32 s2, s22
	s_cbranch_execz .LBB41_36
; %bb.40:                               ;   in Loop: Header=BB41_37 Depth=1
	v_mul_f64_e32 v[29:30], v[11:12], v[11:12]
	s_mov_b32 s15, exec_lo
	s_delay_alu instid0(VALU_DEP_1) | instskip(NEXT) | instid1(VALU_DEP_1)
	v_fma_f64 v[29:30], v[9:10], v[9:10], v[29:30]
	v_div_scale_f64 v[31:32], null, v[29:30], v[29:30], 1.0
	v_div_scale_f64 v[37:38], vcc_lo, 1.0, v[29:30], 1.0
	s_delay_alu instid0(VALU_DEP_2) | instskip(NEXT) | instid1(TRANS32_DEP_1)
	v_rcp_f64_e32 v[33:34], v[31:32]
	v_fma_f64 v[35:36], -v[31:32], v[33:34], 1.0
	s_delay_alu instid0(VALU_DEP_1) | instskip(NEXT) | instid1(VALU_DEP_1)
	v_fma_f64 v[33:34], v[33:34], v[35:36], v[33:34]
	v_fma_f64 v[35:36], -v[31:32], v[33:34], 1.0
	s_delay_alu instid0(VALU_DEP_1) | instskip(NEXT) | instid1(VALU_DEP_1)
	v_fma_f64 v[33:34], v[33:34], v[35:36], v[33:34]
	v_mul_f64_e32 v[35:36], v[37:38], v[33:34]
	s_delay_alu instid0(VALU_DEP_1) | instskip(SKIP_3) | instid1(VALU_DEP_3)
	v_fma_f64 v[31:32], -v[31:32], v[35:36], v[37:38]
	v_mul_f64_e32 v[37:38], v[7:8], v[11:12]
	v_mul_f64_e64 v[11:12], v[11:12], -v[5:6]
	s_wait_alu 0xfffd
	v_div_fmas_f64 v[31:32], v[31:32], v[33:34], v[35:36]
	s_delay_alu instid0(VALU_DEP_3) | instskip(NEXT) | instid1(VALU_DEP_3)
	v_fma_f64 v[5:6], v[5:6], v[9:10], v[37:38]
	v_fma_f64 v[7:8], v[7:8], v[9:10], v[11:12]
	v_add_nc_u32_e32 v9, v27, v22
	s_delay_alu instid0(VALU_DEP_4) | instskip(NEXT) | instid1(VALU_DEP_1)
	v_div_fixup_f64 v[29:30], v[31:32], v[29:30], 1.0
	v_mul_f64_e32 v[5:6], v[5:6], v[29:30]
	s_delay_alu instid0(VALU_DEP_4)
	v_mul_f64_e32 v[7:8], v[7:8], v[29:30]
	global_store_b128 v[20:21], v[5:8], off
	v_cmpx_lt_i32_e64 v9, v28
	s_cbranch_execz .LBB41_35
; %bb.41:                               ;   in Loop: Header=BB41_37 Depth=1
	s_mov_b32 s22, 0
	s_branch .LBB41_43
.LBB41_42:                              ;   in Loop: Header=BB41_43 Depth=2
	s_or_b32 exec_lo, exec_lo, s23
	v_add_nc_u32_e32 v9, 32, v9
	s_delay_alu instid0(VALU_DEP_1) | instskip(SKIP_1) | instid1(SALU_CYCLE_1)
	v_cmp_ge_i32_e32 vcc_lo, v9, v28
	s_or_b32 s22, vcc_lo, s22
	s_and_not1_b32 exec_lo, exec_lo, s22
	s_cbranch_execz .LBB41_35
.LBB41_43:                              ;   Parent Loop BB41_37 Depth=1
                                        ; =>  This Loop Header: Depth=2
                                        ;       Child Loop BB41_52 Depth 3
	v_ashrrev_i32_e32 v10, 31, v9
	s_mov_b32 s23, 0
                                        ; implicit-def: $sgpr24
                                        ; implicit-def: $sgpr25
                                        ; implicit-def: $sgpr26
	s_delay_alu instid0(VALU_DEP_1) | instskip(NEXT) | instid1(VALU_DEP_1)
	v_lshlrev_b64_e32 v[11:12], 2, v[9:10]
	v_add_co_u32 v11, vcc_lo, s6, v11
	s_wait_alu 0xfffd
	s_delay_alu instid0(VALU_DEP_2)
	v_add_co_ci_u32_e64 v12, null, s7, v12, vcc_lo
	global_load_b32 v11, v[11:12], off
	v_mov_b32_e32 v12, 64
	s_wait_loadcnt 0x0
	v_mul_lo_u32 v21, v11, 39
	s_branch .LBB41_52
.LBB41_44:                              ;   in Loop: Header=BB41_52 Depth=3
	s_or_b32 exec_lo, exec_lo, s39
	s_delay_alu instid0(SALU_CYCLE_1)
	s_or_not1_b32 s37, s37, exec_lo
	s_or_not1_b32 s38, s38, exec_lo
.LBB41_45:                              ;   in Loop: Header=BB41_52 Depth=3
	s_or_b32 exec_lo, exec_lo, s36
	s_delay_alu instid0(SALU_CYCLE_1)
	s_and_b32 s37, s37, exec_lo
	s_or_not1_b32 s36, s38, exec_lo
.LBB41_46:                              ;   in Loop: Header=BB41_52 Depth=3
	s_or_b32 exec_lo, exec_lo, s35
	s_delay_alu instid0(SALU_CYCLE_1)
	s_or_not1_b32 s35, s37, exec_lo
	s_or_not1_b32 s36, s36, exec_lo
.LBB41_47:                              ;   in Loop: Header=BB41_52 Depth=3
	s_or_b32 exec_lo, exec_lo, s34
	s_delay_alu instid0(SALU_CYCLE_1)
	s_and_b32 s35, s35, exec_lo
	s_or_not1_b32 s34, s36, exec_lo
.LBB41_48:                              ;   in Loop: Header=BB41_52 Depth=3
	s_or_b32 exec_lo, exec_lo, s33
	s_delay_alu instid0(SALU_CYCLE_1)
	s_or_not1_b32 s33, s35, exec_lo
	s_or_not1_b32 s34, s34, exec_lo
.LBB41_49:                              ;   in Loop: Header=BB41_52 Depth=3
	s_or_b32 exec_lo, exec_lo, s31
	s_delay_alu instid0(SALU_CYCLE_1)
	s_and_b32 s33, s33, exec_lo
	s_or_not1_b32 s31, s34, exec_lo
.LBB41_50:                              ;   in Loop: Header=BB41_52 Depth=3
	s_or_b32 exec_lo, exec_lo, s30
	s_wait_alu 0xfffe
	s_and_not1_b32 s26, s26, exec_lo
	s_and_b32 s30, s33, exec_lo
	s_and_not1_b32 s25, s25, exec_lo
	s_and_b32 s31, s31, exec_lo
	s_wait_alu 0xfffe
	s_or_b32 s26, s26, s30
	s_or_b32 s25, s25, s31
.LBB41_51:                              ;   in Loop: Header=BB41_52 Depth=3
	s_wait_alu 0xfffe
	s_or_b32 exec_lo, exec_lo, s27
	s_delay_alu instid0(SALU_CYCLE_1)
	s_and_b32 s27, exec_lo, s25
	s_wait_alu 0xfffe
	s_or_b32 s23, s27, s23
	s_and_not1_b32 s24, s24, exec_lo
	s_and_b32 s27, s26, exec_lo
	s_wait_alu 0xfffe
	s_or_b32 s24, s24, s27
	s_and_not1_b32 exec_lo, exec_lo, s23
	s_cbranch_execz .LBB41_61
.LBB41_52:                              ;   Parent Loop BB41_37 Depth=1
                                        ;     Parent Loop BB41_43 Depth=2
                                        ; =>    This Inner Loop Header: Depth=3
	s_delay_alu instid0(VALU_DEP_1) | instskip(SKIP_3) | instid1(VALU_DEP_1)
	v_and_b32_e32 v20, 63, v21
	s_or_b32 s26, s26, exec_lo
	s_or_b32 s25, s25, exec_lo
	s_mov_b32 s27, exec_lo
	v_lshl_add_u32 v22, v20, 2, v26
	ds_load_b32 v22, v22
	s_wait_dscnt 0x0
	v_cmpx_ne_u32_e32 -1, v22
	s_cbranch_execz .LBB41_51
; %bb.53:                               ;   in Loop: Header=BB41_52 Depth=3
	s_mov_b32 s31, -1
	s_mov_b32 s33, 0
	s_mov_b32 s30, exec_lo
	v_cmpx_ne_u32_e64 v22, v11
	s_cbranch_execz .LBB41_50
; %bb.54:                               ;   in Loop: Header=BB41_52 Depth=3
	v_add_nc_u32_e32 v20, 1, v21
	s_mov_b32 s34, -1
	s_mov_b32 s33, -1
	s_mov_b32 s31, exec_lo
	s_delay_alu instid0(VALU_DEP_1) | instskip(NEXT) | instid1(VALU_DEP_1)
	v_and_b32_e32 v20, 63, v20
	v_lshl_add_u32 v22, v20, 2, v26
	ds_load_b32 v22, v22
	s_wait_dscnt 0x0
	v_cmpx_ne_u32_e32 -1, v22
	s_cbranch_execz .LBB41_49
; %bb.55:                               ;   in Loop: Header=BB41_52 Depth=3
	s_mov_b32 s35, 0
	s_mov_b32 s33, exec_lo
	v_cmpx_ne_u32_e64 v22, v11
	s_cbranch_execz .LBB41_48
; %bb.56:                               ;   in Loop: Header=BB41_52 Depth=3
	v_add_nc_u32_e32 v20, 2, v21
	s_mov_b32 s36, -1
	s_mov_b32 s35, -1
	s_mov_b32 s34, exec_lo
	s_delay_alu instid0(VALU_DEP_1) | instskip(NEXT) | instid1(VALU_DEP_1)
	v_and_b32_e32 v20, 63, v20
	v_lshl_add_u32 v22, v20, 2, v26
	ds_load_b32 v22, v22
	s_wait_dscnt 0x0
	v_cmpx_ne_u32_e32 -1, v22
	s_cbranch_execz .LBB41_47
; %bb.57:                               ;   in Loop: Header=BB41_52 Depth=3
	s_mov_b32 s37, 0
	s_mov_b32 s35, exec_lo
	v_cmpx_ne_u32_e64 v22, v11
	s_cbranch_execz .LBB41_46
; %bb.58:                               ;   in Loop: Header=BB41_52 Depth=3
	v_add_nc_u32_e32 v20, 3, v21
	s_mov_b32 s38, -1
	s_mov_b32 s37, -1
	s_mov_b32 s36, exec_lo
	s_delay_alu instid0(VALU_DEP_1) | instskip(NEXT) | instid1(VALU_DEP_1)
	v_and_b32_e32 v20, 63, v20
	v_lshl_add_u32 v21, v20, 2, v26
	ds_load_b32 v22, v21
                                        ; implicit-def: $vgpr21
	s_wait_dscnt 0x0
	v_cmpx_ne_u32_e32 -1, v22
	s_cbranch_execz .LBB41_45
; %bb.59:                               ;   in Loop: Header=BB41_52 Depth=3
	s_mov_b32 s37, 0
	s_mov_b32 s39, exec_lo
                                        ; implicit-def: $vgpr21
	v_cmpx_ne_u32_e64 v22, v11
	s_cbranch_execz .LBB41_44
; %bb.60:                               ;   in Loop: Header=BB41_52 Depth=3
	v_add_nc_u32_e32 v12, -4, v12
	v_add_nc_u32_e32 v21, 1, v20
	s_mov_b32 s37, exec_lo
	s_delay_alu instid0(VALU_DEP_2)
	v_cmp_eq_u32_e32 vcc_lo, 0, v12
	s_or_not1_b32 s38, vcc_lo, exec_lo
	s_branch .LBB41_44
.LBB41_61:                              ;   in Loop: Header=BB41_43 Depth=2
	s_or_b32 exec_lo, exec_lo, s23
	s_wait_alu 0xfffe
	s_xor_b32 s23, s24, -1
	s_delay_alu instid0(SALU_CYCLE_1)
	s_and_saveexec_b32 s24, s23
	s_wait_alu 0xfffe
	s_xor_b32 s23, exec_lo, s24
	s_cbranch_execz .LBB41_42
; %bb.62:                               ;   in Loop: Header=BB41_43 Depth=2
	v_lshl_add_u32 v11, v20, 2, v0
	v_lshlrev_b64_e32 v[20:21], 4, v[9:10]
	ds_load_b32 v11, v11
	v_add_co_u32 v20, vcc_lo, s8, v20
	s_wait_alu 0xfffd
	v_add_co_ci_u32_e64 v21, null, s9, v21, vcc_lo
	s_wait_dscnt 0x0
	v_ashrrev_i32_e32 v12, 31, v11
	s_delay_alu instid0(VALU_DEP_1) | instskip(NEXT) | instid1(VALU_DEP_1)
	v_lshlrev_b64_e32 v[10:11], 4, v[11:12]
	v_add_co_u32 v10, vcc_lo, s8, v10
	s_wait_alu 0xfffd
	s_delay_alu instid0(VALU_DEP_2)
	v_add_co_ci_u32_e64 v11, null, s9, v11, vcc_lo
	s_clause 0x1
	global_load_b128 v[20:23], v[20:21], off
	global_load_b128 v[29:32], v[10:11], off
	s_wait_loadcnt 0x0
	v_fma_f64 v[29:30], -v[5:6], v[20:21], v[29:30]
	v_fma_f64 v[31:32], -v[7:8], v[20:21], v[31:32]
	s_delay_alu instid0(VALU_DEP_2) | instskip(NEXT) | instid1(VALU_DEP_2)
	v_fma_f64 v[20:21], v[7:8], v[22:23], v[29:30]
	v_fma_f64 v[22:23], -v[5:6], v[22:23], v[31:32]
	global_store_b128 v[10:11], v[20:23], off
	s_branch .LBB41_42
.LBB41_63:
	s_wait_alu 0xfffe
	s_or_b32 exec_lo, exec_lo, s3
	s_delay_alu instid0(SALU_CYCLE_1)
	s_mov_b32 s3, exec_lo
	s_wait_loadcnt 0x0
	s_wait_storecnt 0x0
	global_inv scope:SCOPE_SE
	v_cmpx_lt_i32_e32 -1, v18
	s_cbranch_execz .LBB41_85
; %bb.64:
	v_mov_b32_e32 v19, 0
	s_mov_b32 s2, exec_lo
	s_delay_alu instid0(VALU_DEP_1) | instskip(NEXT) | instid1(VALU_DEP_1)
	v_lshlrev_b64_e32 v[5:6], 4, v[18:19]
	v_add_co_u32 v9, vcc_lo, s8, v5
	s_wait_alu 0xfffd
	s_delay_alu instid0(VALU_DEP_2)
	v_add_co_ci_u32_e64 v10, null, s9, v6, vcc_lo
	global_load_b128 v[5:8], v[9:10], off
	s_wait_loadcnt 0x0
	v_cmp_gt_f64_e32 vcc_lo, 0, v[5:6]
	v_xor_b32_e32 v0, 0x80000000, v6
	v_xor_b32_e32 v18, 0x80000000, v8
	v_dual_mov_b32 v11, v5 :: v_dual_mov_b32 v20, v7
	s_wait_alu 0xfffd
	s_delay_alu instid0(VALU_DEP_3) | instskip(SKIP_3) | instid1(VALU_DEP_1)
	v_cndmask_b32_e32 v12, v6, v0, vcc_lo
	v_cmp_gt_f64_e32 vcc_lo, 0, v[7:8]
	s_wait_alu 0xfffd
	v_cndmask_b32_e32 v21, v8, v18, vcc_lo
                                        ; implicit-def: $vgpr18_vgpr19
	v_cmpx_ngt_f64_e32 v[11:12], v[20:21]
	s_wait_alu 0xfffe
	s_xor_b32 s2, exec_lo, s2
	s_cbranch_execz .LBB41_68
; %bb.65:
	v_mov_b32_e32 v18, 0
	v_mov_b32_e32 v19, 0
	s_mov_b32 s4, exec_lo
	v_cmpx_neq_f64_e32 0, v[7:8]
	s_cbranch_execz .LBB41_67
; %bb.66:
	v_div_scale_f64 v[18:19], null, v[20:21], v[20:21], v[11:12]
	v_div_scale_f64 v[28:29], vcc_lo, v[11:12], v[20:21], v[11:12]
	s_delay_alu instid0(VALU_DEP_2) | instskip(NEXT) | instid1(TRANS32_DEP_1)
	v_rcp_f64_e32 v[22:23], v[18:19]
	v_fma_f64 v[26:27], -v[18:19], v[22:23], 1.0
	s_delay_alu instid0(VALU_DEP_1) | instskip(NEXT) | instid1(VALU_DEP_1)
	v_fma_f64 v[22:23], v[22:23], v[26:27], v[22:23]
	v_fma_f64 v[26:27], -v[18:19], v[22:23], 1.0
	s_delay_alu instid0(VALU_DEP_1) | instskip(NEXT) | instid1(VALU_DEP_1)
	v_fma_f64 v[22:23], v[22:23], v[26:27], v[22:23]
	v_mul_f64_e32 v[26:27], v[28:29], v[22:23]
	s_delay_alu instid0(VALU_DEP_1) | instskip(SKIP_1) | instid1(VALU_DEP_1)
	v_fma_f64 v[18:19], -v[18:19], v[26:27], v[28:29]
	s_wait_alu 0xfffd
	v_div_fmas_f64 v[18:19], v[18:19], v[22:23], v[26:27]
	s_delay_alu instid0(VALU_DEP_1) | instskip(NEXT) | instid1(VALU_DEP_1)
	v_div_fixup_f64 v[11:12], v[18:19], v[20:21], v[11:12]
	v_fma_f64 v[11:12], v[11:12], v[11:12], 1.0
	s_delay_alu instid0(VALU_DEP_1) | instskip(SKIP_2) | instid1(VALU_DEP_1)
	v_cmp_gt_f64_e32 vcc_lo, 0x10000000, v[11:12]
	s_wait_alu 0xfffd
	v_cndmask_b32_e64 v0, 0, 0x100, vcc_lo
	v_ldexp_f64 v[11:12], v[11:12], v0
	v_cndmask_b32_e64 v0, 0, 0xffffff80, vcc_lo
	s_delay_alu instid0(VALU_DEP_2) | instskip(SKIP_1) | instid1(TRANS32_DEP_1)
	v_rsq_f64_e32 v[18:19], v[11:12]
	v_cmp_class_f64_e64 vcc_lo, v[11:12], 0x260
	v_mul_f64_e32 v[22:23], v[11:12], v[18:19]
	v_mul_f64_e32 v[18:19], 0.5, v[18:19]
	s_delay_alu instid0(VALU_DEP_1) | instskip(NEXT) | instid1(VALU_DEP_1)
	v_fma_f64 v[26:27], -v[18:19], v[22:23], 0.5
	v_fma_f64 v[22:23], v[22:23], v[26:27], v[22:23]
	v_fma_f64 v[18:19], v[18:19], v[26:27], v[18:19]
	s_delay_alu instid0(VALU_DEP_2) | instskip(NEXT) | instid1(VALU_DEP_1)
	v_fma_f64 v[26:27], -v[22:23], v[22:23], v[11:12]
	v_fma_f64 v[22:23], v[26:27], v[18:19], v[22:23]
	s_delay_alu instid0(VALU_DEP_1) | instskip(NEXT) | instid1(VALU_DEP_1)
	v_fma_f64 v[26:27], -v[22:23], v[22:23], v[11:12]
	v_fma_f64 v[18:19], v[26:27], v[18:19], v[22:23]
	s_delay_alu instid0(VALU_DEP_1) | instskip(SKIP_1) | instid1(VALU_DEP_1)
	v_ldexp_f64 v[18:19], v[18:19], v0
	s_wait_alu 0xfffd
	v_dual_cndmask_b32 v12, v19, v12 :: v_dual_cndmask_b32 v11, v18, v11
	s_delay_alu instid0(VALU_DEP_1)
	v_mul_f64_e32 v[18:19], v[20:21], v[11:12]
.LBB41_67:
	s_wait_alu 0xfffe
	s_or_b32 exec_lo, exec_lo, s4
                                        ; implicit-def: $vgpr11_vgpr12
                                        ; implicit-def: $vgpr20_vgpr21
.LBB41_68:
	s_wait_alu 0xfffe
	s_and_not1_saveexec_b32 s2, s2
	s_cbranch_execz .LBB41_70
; %bb.69:
	v_div_scale_f64 v[18:19], null, v[11:12], v[11:12], v[20:21]
	v_div_scale_f64 v[28:29], vcc_lo, v[20:21], v[11:12], v[20:21]
	s_delay_alu instid0(VALU_DEP_2) | instskip(NEXT) | instid1(TRANS32_DEP_1)
	v_rcp_f64_e32 v[22:23], v[18:19]
	v_fma_f64 v[26:27], -v[18:19], v[22:23], 1.0
	s_delay_alu instid0(VALU_DEP_1) | instskip(NEXT) | instid1(VALU_DEP_1)
	v_fma_f64 v[22:23], v[22:23], v[26:27], v[22:23]
	v_fma_f64 v[26:27], -v[18:19], v[22:23], 1.0
	s_delay_alu instid0(VALU_DEP_1) | instskip(NEXT) | instid1(VALU_DEP_1)
	v_fma_f64 v[22:23], v[22:23], v[26:27], v[22:23]
	v_mul_f64_e32 v[26:27], v[28:29], v[22:23]
	s_delay_alu instid0(VALU_DEP_1) | instskip(SKIP_1) | instid1(VALU_DEP_1)
	v_fma_f64 v[18:19], -v[18:19], v[26:27], v[28:29]
	s_wait_alu 0xfffd
	v_div_fmas_f64 v[18:19], v[18:19], v[22:23], v[26:27]
	s_delay_alu instid0(VALU_DEP_1) | instskip(NEXT) | instid1(VALU_DEP_1)
	v_div_fixup_f64 v[18:19], v[18:19], v[11:12], v[20:21]
	v_fma_f64 v[18:19], v[18:19], v[18:19], 1.0
	s_delay_alu instid0(VALU_DEP_1) | instskip(SKIP_2) | instid1(VALU_DEP_1)
	v_cmp_gt_f64_e32 vcc_lo, 0x10000000, v[18:19]
	s_wait_alu 0xfffd
	v_cndmask_b32_e64 v0, 0, 0x100, vcc_lo
	v_ldexp_f64 v[18:19], v[18:19], v0
	v_cndmask_b32_e64 v0, 0, 0xffffff80, vcc_lo
	s_delay_alu instid0(VALU_DEP_2) | instskip(SKIP_1) | instid1(TRANS32_DEP_1)
	v_rsq_f64_e32 v[20:21], v[18:19]
	v_cmp_class_f64_e64 vcc_lo, v[18:19], 0x260
	v_mul_f64_e32 v[22:23], v[18:19], v[20:21]
	v_mul_f64_e32 v[20:21], 0.5, v[20:21]
	s_delay_alu instid0(VALU_DEP_1) | instskip(NEXT) | instid1(VALU_DEP_1)
	v_fma_f64 v[26:27], -v[20:21], v[22:23], 0.5
	v_fma_f64 v[22:23], v[22:23], v[26:27], v[22:23]
	v_fma_f64 v[20:21], v[20:21], v[26:27], v[20:21]
	s_delay_alu instid0(VALU_DEP_2) | instskip(NEXT) | instid1(VALU_DEP_1)
	v_fma_f64 v[26:27], -v[22:23], v[22:23], v[18:19]
	v_fma_f64 v[22:23], v[26:27], v[20:21], v[22:23]
	s_delay_alu instid0(VALU_DEP_1) | instskip(NEXT) | instid1(VALU_DEP_1)
	v_fma_f64 v[26:27], -v[22:23], v[22:23], v[18:19]
	v_fma_f64 v[20:21], v[26:27], v[20:21], v[22:23]
	s_delay_alu instid0(VALU_DEP_1) | instskip(SKIP_1) | instid1(VALU_DEP_1)
	v_ldexp_f64 v[20:21], v[20:21], v0
	s_wait_alu 0xfffd
	v_dual_cndmask_b32 v19, v21, v19 :: v_dual_cndmask_b32 v18, v20, v18
	s_delay_alu instid0(VALU_DEP_1)
	v_mul_f64_e32 v[18:19], v[11:12], v[18:19]
.LBB41_70:
	s_wait_alu 0xfffe
	s_or_b32 exec_lo, exec_lo, s2
	v_cmp_ne_u32_e32 vcc_lo, 1, v25
	v_cmp_eq_u32_e64 s2, 0, v24
	s_mov_b32 s4, -1
	s_cbranch_vccnz .LBB41_74
; %bb.71:
	v_cvt_f64_f32_e32 v[11:12], s29
	s_cmp_eq_u64 s[20:21], 8
	s_cselect_b32 vcc_lo, -1, 0
	s_wait_alu 0xfffe
	s_delay_alu instid0(VALU_DEP_1) | instskip(NEXT) | instid1(VALU_DEP_1)
	v_dual_cndmask_b32 v12, v12, v16 :: v_dual_cndmask_b32 v11, v11, v15
	v_cmp_le_f64_e32 vcc_lo, v[18:19], v[11:12]
	s_and_b32 s5, s2, vcc_lo
	s_wait_alu 0xfffe
	s_and_saveexec_b32 s4, s5
	s_cbranch_execz .LBB41_73
; %bb.72:
	global_store_b128 v[9:10], v[1:4], off
	s_wait_storecnt 0x0
	global_inv scope:SCOPE_DEV
.LBB41_73:
	s_wait_alu 0xfffe
	s_or_b32 exec_lo, exec_lo, s4
	s_mov_b32 s4, 0
.LBB41_74:
	s_wait_alu 0xfffe
	s_and_not1_b32 vcc_lo, exec_lo, s4
	s_wait_alu 0xfffe
	s_cbranch_vccnz .LBB41_85
; %bb.75:
	s_load_b64 s[0:1], s[0:1], 0x48
	v_add_nc_u32_e32 v0, s28, v17
	s_wait_kmcnt 0x0
	v_cmp_ge_f64_e32 vcc_lo, s[0:1], v[18:19]
	s_and_b32 s1, s2, vcc_lo
	s_wait_alu 0xfffe
	s_and_saveexec_b32 s0, s1
	s_cbranch_execz .LBB41_80
; %bb.76:
	s_mov_b32 s4, exec_lo
	s_brev_b32 s1, -2
.LBB41_77:                              ; =>This Inner Loop Header: Depth=1
	s_wait_alu 0xfffe
	s_ctz_i32_b32 s5, s4
	s_wait_alu 0xfffe
	v_readlane_b32 s6, v0, s5
	s_lshl_b32 s5, 1, s5
	s_wait_alu 0xfffe
	s_and_not1_b32 s4, s4, s5
	s_min_i32 s1, s1, s6
	s_wait_alu 0xfffe
	s_cmp_lg_u32 s4, 0
	s_cbranch_scc1 .LBB41_77
; %bb.78:
	v_mbcnt_lo_u32_b32 v1, exec_lo, 0
	s_mov_b32 s4, exec_lo
	s_delay_alu instid0(VALU_DEP_1)
	v_cmpx_eq_u32_e32 0, v1
	s_wait_alu 0xfffe
	s_xor_b32 s4, exec_lo, s4
	s_cbranch_execz .LBB41_80
; %bb.79:
	v_dual_mov_b32 v1, 0 :: v_dual_mov_b32 v2, s1
	global_atomic_min_i32 v1, v2, s[18:19] scope:SCOPE_DEV
.LBB41_80:
	s_wait_alu 0xfffe
	s_or_b32 exec_lo, exec_lo, s0
	v_cmp_eq_f64_e32 vcc_lo, 0, v[5:6]
	v_cmp_eq_f64_e64 s0, 0, v[7:8]
	s_and_b32 s0, vcc_lo, s0
	s_wait_alu 0xfffe
	s_and_b32 s0, s2, s0
	s_wait_alu 0xfffe
	s_and_b32 exec_lo, exec_lo, s0
	s_cbranch_execz .LBB41_85
; %bb.81:
	s_mov_b32 s1, exec_lo
	s_brev_b32 s0, -2
.LBB41_82:                              ; =>This Inner Loop Header: Depth=1
	s_wait_alu 0xfffe
	s_ctz_i32_b32 s2, s1
	s_wait_alu 0xfffe
	v_readlane_b32 s4, v0, s2
	s_lshl_b32 s2, 1, s2
	s_wait_alu 0xfffe
	s_and_not1_b32 s1, s1, s2
	s_min_i32 s0, s0, s4
	s_wait_alu 0xfffe
	s_cmp_lg_u32 s1, 0
	s_cbranch_scc1 .LBB41_82
; %bb.83:
	v_mbcnt_lo_u32_b32 v0, exec_lo, 0
	s_mov_b32 s1, exec_lo
	s_delay_alu instid0(VALU_DEP_1)
	v_cmpx_eq_u32_e32 0, v0
	s_wait_alu 0xfffe
	s_xor_b32 s1, exec_lo, s1
	s_cbranch_execz .LBB41_85
; %bb.84:
	v_dual_mov_b32 v0, 0 :: v_dual_mov_b32 v1, s0
	global_atomic_min_i32 v0, v1, s[16:17] scope:SCOPE_DEV
.LBB41_85:
	s_wait_alu 0xfffe
	s_or_b32 exec_lo, exec_lo, s3
	v_cmp_eq_u32_e32 vcc_lo, 0, v24
	s_wait_loadcnt 0x0
	s_wait_storecnt 0x0
	global_inv scope:SCOPE_DEV
	s_and_b32 exec_lo, exec_lo, vcc_lo
	s_cbranch_execz .LBB41_87
; %bb.86:
	v_add_co_u32 v0, vcc_lo, s12, v13
	s_wait_alu 0xfffd
	v_add_co_ci_u32_e64 v1, null, s13, v14, vcc_lo
	v_mov_b32_e32 v2, 1
	s_wait_loadcnt 0x0
	global_store_b32 v[0:1], v2, off scope:SCOPE_DEV
.LBB41_87:
	s_endpgm
	.section	.rodata,"a",@progbits
	.p2align	6, 0x0
	.amdhsa_kernel _ZN9rocsparseL12csrilu0_hashILj256ELj32ELj2E21rocsparse_complex_numIdEEEviPKiS4_PT2_S4_PiS4_S7_S7_d21rocsparse_index_base_imNS_24const_host_device_scalarIfEENS9_IdEENS9_IS5_EEb
		.amdhsa_group_segment_fixed_size 4096
		.amdhsa_private_segment_fixed_size 16
		.amdhsa_kernarg_size 132
		.amdhsa_user_sgpr_count 2
		.amdhsa_user_sgpr_dispatch_ptr 0
		.amdhsa_user_sgpr_queue_ptr 0
		.amdhsa_user_sgpr_kernarg_segment_ptr 1
		.amdhsa_user_sgpr_dispatch_id 0
		.amdhsa_user_sgpr_private_segment_size 0
		.amdhsa_wavefront_size32 1
		.amdhsa_uses_dynamic_stack 0
		.amdhsa_enable_private_segment 1
		.amdhsa_system_sgpr_workgroup_id_x 1
		.amdhsa_system_sgpr_workgroup_id_y 0
		.amdhsa_system_sgpr_workgroup_id_z 0
		.amdhsa_system_sgpr_workgroup_info 0
		.amdhsa_system_vgpr_workitem_id 0
		.amdhsa_next_free_vgpr 39
		.amdhsa_next_free_sgpr 40
		.amdhsa_reserve_vcc 1
		.amdhsa_float_round_mode_32 0
		.amdhsa_float_round_mode_16_64 0
		.amdhsa_float_denorm_mode_32 3
		.amdhsa_float_denorm_mode_16_64 3
		.amdhsa_fp16_overflow 0
		.amdhsa_workgroup_processor_mode 1
		.amdhsa_memory_ordered 1
		.amdhsa_forward_progress 1
		.amdhsa_inst_pref_size 33
		.amdhsa_round_robin_scheduling 0
		.amdhsa_exception_fp_ieee_invalid_op 0
		.amdhsa_exception_fp_denorm_src 0
		.amdhsa_exception_fp_ieee_div_zero 0
		.amdhsa_exception_fp_ieee_overflow 0
		.amdhsa_exception_fp_ieee_underflow 0
		.amdhsa_exception_fp_ieee_inexact 0
		.amdhsa_exception_int_div_zero 0
	.end_amdhsa_kernel
	.section	.text._ZN9rocsparseL12csrilu0_hashILj256ELj32ELj2E21rocsparse_complex_numIdEEEviPKiS4_PT2_S4_PiS4_S7_S7_d21rocsparse_index_base_imNS_24const_host_device_scalarIfEENS9_IdEENS9_IS5_EEb,"axG",@progbits,_ZN9rocsparseL12csrilu0_hashILj256ELj32ELj2E21rocsparse_complex_numIdEEEviPKiS4_PT2_S4_PiS4_S7_S7_d21rocsparse_index_base_imNS_24const_host_device_scalarIfEENS9_IdEENS9_IS5_EEb,comdat
.Lfunc_end41:
	.size	_ZN9rocsparseL12csrilu0_hashILj256ELj32ELj2E21rocsparse_complex_numIdEEEviPKiS4_PT2_S4_PiS4_S7_S7_d21rocsparse_index_base_imNS_24const_host_device_scalarIfEENS9_IdEENS9_IS5_EEb, .Lfunc_end41-_ZN9rocsparseL12csrilu0_hashILj256ELj32ELj2E21rocsparse_complex_numIdEEEviPKiS4_PT2_S4_PiS4_S7_S7_d21rocsparse_index_base_imNS_24const_host_device_scalarIfEENS9_IdEENS9_IS5_EEb
                                        ; -- End function
	.set _ZN9rocsparseL12csrilu0_hashILj256ELj32ELj2E21rocsparse_complex_numIdEEEviPKiS4_PT2_S4_PiS4_S7_S7_d21rocsparse_index_base_imNS_24const_host_device_scalarIfEENS9_IdEENS9_IS5_EEb.num_vgpr, 39
	.set _ZN9rocsparseL12csrilu0_hashILj256ELj32ELj2E21rocsparse_complex_numIdEEEviPKiS4_PT2_S4_PiS4_S7_S7_d21rocsparse_index_base_imNS_24const_host_device_scalarIfEENS9_IdEENS9_IS5_EEb.num_agpr, 0
	.set _ZN9rocsparseL12csrilu0_hashILj256ELj32ELj2E21rocsparse_complex_numIdEEEviPKiS4_PT2_S4_PiS4_S7_S7_d21rocsparse_index_base_imNS_24const_host_device_scalarIfEENS9_IdEENS9_IS5_EEb.numbered_sgpr, 40
	.set _ZN9rocsparseL12csrilu0_hashILj256ELj32ELj2E21rocsparse_complex_numIdEEEviPKiS4_PT2_S4_PiS4_S7_S7_d21rocsparse_index_base_imNS_24const_host_device_scalarIfEENS9_IdEENS9_IS5_EEb.num_named_barrier, 0
	.set _ZN9rocsparseL12csrilu0_hashILj256ELj32ELj2E21rocsparse_complex_numIdEEEviPKiS4_PT2_S4_PiS4_S7_S7_d21rocsparse_index_base_imNS_24const_host_device_scalarIfEENS9_IdEENS9_IS5_EEb.private_seg_size, 16
	.set _ZN9rocsparseL12csrilu0_hashILj256ELj32ELj2E21rocsparse_complex_numIdEEEviPKiS4_PT2_S4_PiS4_S7_S7_d21rocsparse_index_base_imNS_24const_host_device_scalarIfEENS9_IdEENS9_IS5_EEb.uses_vcc, 1
	.set _ZN9rocsparseL12csrilu0_hashILj256ELj32ELj2E21rocsparse_complex_numIdEEEviPKiS4_PT2_S4_PiS4_S7_S7_d21rocsparse_index_base_imNS_24const_host_device_scalarIfEENS9_IdEENS9_IS5_EEb.uses_flat_scratch, 0
	.set _ZN9rocsparseL12csrilu0_hashILj256ELj32ELj2E21rocsparse_complex_numIdEEEviPKiS4_PT2_S4_PiS4_S7_S7_d21rocsparse_index_base_imNS_24const_host_device_scalarIfEENS9_IdEENS9_IS5_EEb.has_dyn_sized_stack, 0
	.set _ZN9rocsparseL12csrilu0_hashILj256ELj32ELj2E21rocsparse_complex_numIdEEEviPKiS4_PT2_S4_PiS4_S7_S7_d21rocsparse_index_base_imNS_24const_host_device_scalarIfEENS9_IdEENS9_IS5_EEb.has_recursion, 0
	.set _ZN9rocsparseL12csrilu0_hashILj256ELj32ELj2E21rocsparse_complex_numIdEEEviPKiS4_PT2_S4_PiS4_S7_S7_d21rocsparse_index_base_imNS_24const_host_device_scalarIfEENS9_IdEENS9_IS5_EEb.has_indirect_call, 0
	.section	.AMDGPU.csdata,"",@progbits
; Kernel info:
; codeLenInByte = 4100
; TotalNumSgprs: 42
; NumVgprs: 39
; ScratchSize: 16
; MemoryBound: 0
; FloatMode: 240
; IeeeMode: 1
; LDSByteSize: 4096 bytes/workgroup (compile time only)
; SGPRBlocks: 0
; VGPRBlocks: 4
; NumSGPRsForWavesPerEU: 42
; NumVGPRsForWavesPerEU: 39
; Occupancy: 16
; WaveLimiterHint : 1
; COMPUTE_PGM_RSRC2:SCRATCH_EN: 1
; COMPUTE_PGM_RSRC2:USER_SGPR: 2
; COMPUTE_PGM_RSRC2:TRAP_HANDLER: 0
; COMPUTE_PGM_RSRC2:TGID_X_EN: 1
; COMPUTE_PGM_RSRC2:TGID_Y_EN: 0
; COMPUTE_PGM_RSRC2:TGID_Z_EN: 0
; COMPUTE_PGM_RSRC2:TIDIG_COMP_CNT: 0
	.section	.text._ZN9rocsparseL12csrilu0_hashILj256ELj32ELj4E21rocsparse_complex_numIdEEEviPKiS4_PT2_S4_PiS4_S7_S7_d21rocsparse_index_base_imNS_24const_host_device_scalarIfEENS9_IdEENS9_IS5_EEb,"axG",@progbits,_ZN9rocsparseL12csrilu0_hashILj256ELj32ELj4E21rocsparse_complex_numIdEEEviPKiS4_PT2_S4_PiS4_S7_S7_d21rocsparse_index_base_imNS_24const_host_device_scalarIfEENS9_IdEENS9_IS5_EEb,comdat
	.globl	_ZN9rocsparseL12csrilu0_hashILj256ELj32ELj4E21rocsparse_complex_numIdEEEviPKiS4_PT2_S4_PiS4_S7_S7_d21rocsparse_index_base_imNS_24const_host_device_scalarIfEENS9_IdEENS9_IS5_EEb ; -- Begin function _ZN9rocsparseL12csrilu0_hashILj256ELj32ELj4E21rocsparse_complex_numIdEEEviPKiS4_PT2_S4_PiS4_S7_S7_d21rocsparse_index_base_imNS_24const_host_device_scalarIfEENS9_IdEENS9_IS5_EEb
	.p2align	8
	.type	_ZN9rocsparseL12csrilu0_hashILj256ELj32ELj4E21rocsparse_complex_numIdEEEviPKiS4_PT2_S4_PiS4_S7_S7_d21rocsparse_index_base_imNS_24const_host_device_scalarIfEENS9_IdEENS9_IS5_EEb,@function
_ZN9rocsparseL12csrilu0_hashILj256ELj32ELj4E21rocsparse_complex_numIdEEEviPKiS4_PT2_S4_PiS4_S7_S7_d21rocsparse_index_base_imNS_24const_host_device_scalarIfEENS9_IdEENS9_IS5_EEb: ; @_ZN9rocsparseL12csrilu0_hashILj256ELj32ELj4E21rocsparse_complex_numIdEEEviPKiS4_PT2_S4_PiS4_S7_S7_d21rocsparse_index_base_imNS_24const_host_device_scalarIfEENS9_IdEENS9_IS5_EEb
; %bb.0:
	s_clause 0x2
	s_load_b96 s[4:6], s[0:1], 0x78
	s_load_b64 s[28:29], s[0:1], 0x50
	s_load_b256 s[20:27], s[0:1], 0x58
	s_wait_kmcnt 0x0
	s_bitcmp1_b32 s6, 0
	s_cselect_b32 s6, -1, 0
	s_cmp_eq_u32 s29, 0
	v_dual_mov_b32 v1, s26 :: v_dual_mov_b32 v2, s27
	s_cselect_b32 s2, -1, 0
	s_cmp_lg_u32 s29, 0
	s_cselect_b32 s7, -1, 0
	s_or_b32 s9, s2, s6
	scratch_store_b64 off, v[1:2], off
	s_xor_b32 s8, s9, -1
	s_and_b32 s2, s2, exec_lo
	s_cselect_b32 s3, 0, s25
	s_cselect_b32 s2, 0, s24
	;; [unrolled: 1-line block ×3, first 2 shown]
	s_and_b32 vcc_lo, exec_lo, s9
	s_cbranch_vccnz .LBB42_2
; %bb.1:
	s_load_b32 s29, s[22:23], 0x0
	s_mov_b64 s[2:3], s[24:25]
.LBB42_2:
	s_delay_alu instid0(SALU_CYCLE_1)
	v_dual_mov_b32 v16, s3 :: v_dual_mov_b32 v15, s2
	s_and_not1_b32 vcc_lo, exec_lo, s8
	s_cbranch_vccnz .LBB42_4
; %bb.3:
	v_dual_mov_b32 v1, s24 :: v_dual_mov_b32 v2, s25
	flat_load_b64 v[15:16], v[1:2]
.LBB42_4:
	v_mov_b32_e32 v3, 0
	v_dual_mov_b32 v4, 0 :: v_dual_mov_b32 v1, 0
	v_cndmask_b32_e64 v25, 0, 1, s7
	v_mov_b32_e32 v2, 0
	s_and_not1_b32 vcc_lo, exec_lo, s7
	s_cbranch_vccnz .LBB42_7
; %bb.5:
	s_mov_b64 s[2:3], src_private_base
	s_xor_b32 s2, s6, -1
	s_and_b32 s6, s6, exec_lo
	s_cselect_b32 s6, 0, s26
	s_wait_alu 0xfffe
	s_cselect_b32 s3, s3, s27
	s_wait_alu 0xfffe
	v_dual_mov_b32 v1, s6 :: v_dual_mov_b32 v2, s3
	v_dual_mov_b32 v3, s4 :: v_dual_mov_b32 v4, s5
	s_and_not1_b32 vcc_lo, exec_lo, s2
	flat_load_b64 v[1:2], v[1:2]
	s_cbranch_vccnz .LBB42_7
; %bb.6:
	v_dual_mov_b32 v3, s26 :: v_dual_mov_b32 v4, s27
	flat_load_b64 v[3:4], v[3:4] offset:8
.LBB42_7:
	v_lshrrev_b32_e32 v5, 5, v0
	v_and_b32_e32 v24, 31, v0
	s_mov_b32 s2, 0
	s_delay_alu instid0(VALU_DEP_2) | instskip(NEXT) | instid1(VALU_DEP_2)
	v_lshlrev_b32_e32 v7, 9, v5
	v_lshlrev_b32_e32 v8, 2, v24
	v_or_b32_e32 v6, 0xffffffe0, v24
	s_delay_alu instid0(VALU_DEP_2)
	v_or3_b32 v7, v7, v8, 0x1000
	v_mov_b32_e32 v8, -1
.LBB42_8:                               ; =>This Inner Loop Header: Depth=1
	s_delay_alu instid0(VALU_DEP_3)
	v_add_nc_u32_e32 v6, 32, v6
	ds_store_b32 v7, v8
	v_add_nc_u32_e32 v7, 0x80, v7
	v_cmp_lt_u32_e32 vcc_lo, 0x5f, v6
	s_wait_alu 0xfffe
	s_or_b32 s2, vcc_lo, s2
	s_wait_alu 0xfffe
	s_and_not1_b32 exec_lo, exec_lo, s2
	s_cbranch_execnz .LBB42_8
; %bb.9:
	s_or_b32 exec_lo, exec_lo, s2
	s_load_b32 s2, s[0:1], 0x0
	s_lshl_b32 s3, ttmp9, 3
	s_wait_storecnt 0x0
	s_wait_loadcnt_dscnt 0x0
	global_inv scope:SCOPE_SE
	s_wait_alu 0xfffe
	v_and_or_b32 v5, 0x7fffff8, s3, v5
	s_wait_kmcnt 0x0
	s_delay_alu instid0(VALU_DEP_1)
	v_cmp_gt_i32_e32 vcc_lo, s2, v5
	s_and_saveexec_b32 s2, vcc_lo
	s_cbranch_execz .LBB42_87
; %bb.10:
	s_load_b512 s[4:19], s[0:1], 0x8
	v_lshlrev_b32_e32 v5, 2, v5
	v_lshlrev_b32_e32 v0, 4, v0
	s_mov_b32 s2, exec_lo
	s_delay_alu instid0(VALU_DEP_1) | instskip(NEXT) | instid1(VALU_DEP_1)
	v_and_b32_e32 v0, 0xe00, v0
	v_or_b32_e32 v26, 0x1000, v0
	s_wait_kmcnt 0x0
	global_load_b32 v17, v5, s[14:15]
	s_wait_loadcnt 0x0
	v_ashrrev_i32_e32 v18, 31, v17
	s_delay_alu instid0(VALU_DEP_1) | instskip(NEXT) | instid1(VALU_DEP_1)
	v_lshlrev_b64_e32 v[13:14], 2, v[17:18]
	v_add_co_u32 v5, vcc_lo, s4, v13
	s_delay_alu instid0(VALU_DEP_1)
	v_add_co_ci_u32_e64 v6, null, s5, v14, vcc_lo
	v_add_co_u32 v7, vcc_lo, s10, v13
	s_wait_alu 0xfffd
	v_add_co_ci_u32_e64 v8, null, s11, v14, vcc_lo
	global_load_b64 v[5:6], v[5:6], off
	global_load_b32 v18, v[7:8], off
	s_wait_loadcnt 0x1
	v_subrev_nc_u32_e32 v19, s28, v5
	v_subrev_nc_u32_e32 v7, s28, v6
	s_delay_alu instid0(VALU_DEP_2) | instskip(NEXT) | instid1(VALU_DEP_1)
	v_add_nc_u32_e32 v5, v19, v24
	v_cmpx_lt_i32_e64 v5, v7
	s_cbranch_execz .LBB42_33
; %bb.11:
	v_mov_b32_e32 v8, -1
	s_mov_b32 s3, 0
	s_branch .LBB42_13
.LBB42_12:                              ;   in Loop: Header=BB42_13 Depth=1
	s_or_b32 exec_lo, exec_lo, s14
	v_add_nc_u32_e32 v5, 32, v5
	s_delay_alu instid0(VALU_DEP_1)
	v_cmp_ge_i32_e32 vcc_lo, v5, v7
	s_or_b32 s3, vcc_lo, s3
	s_wait_alu 0xfffe
	s_and_not1_b32 exec_lo, exec_lo, s3
	s_cbranch_execz .LBB42_33
.LBB42_13:                              ; =>This Loop Header: Depth=1
                                        ;     Child Loop BB42_22 Depth 2
	v_ashrrev_i32_e32 v6, 31, v5
	s_mov_b32 s14, 0
                                        ; implicit-def: $sgpr15
                                        ; implicit-def: $sgpr22
                                        ; implicit-def: $sgpr23
	s_delay_alu instid0(VALU_DEP_1) | instskip(NEXT) | instid1(VALU_DEP_1)
	v_lshlrev_b64_e32 v[9:10], 2, v[5:6]
	v_add_co_u32 v9, vcc_lo, s6, v9
	s_wait_alu 0xfffd
	s_delay_alu instid0(VALU_DEP_2)
	v_add_co_ci_u32_e64 v10, null, s7, v10, vcc_lo
	global_load_b32 v6, v[9:10], off
	v_mov_b32_e32 v9, 0x80
	s_wait_loadcnt 0x0
	v_mul_lo_u32 v11, 0x67, v6
	s_branch .LBB42_22
.LBB42_14:                              ;   in Loop: Header=BB42_22 Depth=2
	s_or_b32 exec_lo, exec_lo, s36
	s_delay_alu instid0(SALU_CYCLE_1)
	s_or_not1_b32 s34, s34, exec_lo
	s_or_not1_b32 s35, s35, exec_lo
.LBB42_15:                              ;   in Loop: Header=BB42_22 Depth=2
	s_or_b32 exec_lo, exec_lo, s33
	s_delay_alu instid0(SALU_CYCLE_1)
	s_and_b32 s34, s34, exec_lo
	s_or_not1_b32 s33, s35, exec_lo
.LBB42_16:                              ;   in Loop: Header=BB42_22 Depth=2
	s_or_b32 exec_lo, exec_lo, s31
	s_delay_alu instid0(SALU_CYCLE_1)
	s_or_not1_b32 s31, s34, exec_lo
	s_or_not1_b32 s33, s33, exec_lo
.LBB42_17:                              ;   in Loop: Header=BB42_22 Depth=2
	s_or_b32 exec_lo, exec_lo, s30
	s_delay_alu instid0(SALU_CYCLE_1)
	s_and_b32 s31, s31, exec_lo
	s_or_not1_b32 s30, s33, exec_lo
.LBB42_18:                              ;   in Loop: Header=BB42_22 Depth=2
	s_wait_alu 0xfffe
	s_or_b32 exec_lo, exec_lo, s27
	s_delay_alu instid0(SALU_CYCLE_1)
	s_or_not1_b32 s27, s31, exec_lo
	s_or_not1_b32 s30, s30, exec_lo
.LBB42_19:                              ;   in Loop: Header=BB42_22 Depth=2
	s_wait_alu 0xfffe
	s_or_b32 exec_lo, exec_lo, s26
	s_delay_alu instid0(SALU_CYCLE_1)
	s_and_b32 s27, s27, exec_lo
	s_or_not1_b32 s26, s30, exec_lo
.LBB42_20:                              ;   in Loop: Header=BB42_22 Depth=2
	s_wait_alu 0xfffe
	s_or_b32 exec_lo, exec_lo, s25
	s_delay_alu instid0(SALU_CYCLE_1)
	s_and_not1_b32 s23, s23, exec_lo
	s_and_b32 s25, s27, exec_lo
	s_and_not1_b32 s22, s22, exec_lo
	s_and_b32 s26, s26, exec_lo
	s_wait_alu 0xfffe
	s_or_b32 s23, s23, s25
	s_or_b32 s22, s22, s26
.LBB42_21:                              ;   in Loop: Header=BB42_22 Depth=2
	s_wait_alu 0xfffe
	s_or_b32 exec_lo, exec_lo, s24
	s_delay_alu instid0(SALU_CYCLE_1)
	s_and_b32 s24, exec_lo, s22
	s_wait_alu 0xfffe
	s_or_b32 s14, s24, s14
	s_and_not1_b32 s15, s15, exec_lo
	s_and_b32 s24, s23, exec_lo
	s_wait_alu 0xfffe
	s_or_b32 s15, s15, s24
	s_and_not1_b32 exec_lo, exec_lo, s14
	s_cbranch_execz .LBB42_31
.LBB42_22:                              ;   Parent Loop BB42_13 Depth=1
                                        ; =>  This Inner Loop Header: Depth=2
	s_delay_alu instid0(VALU_DEP_1) | instskip(SKIP_3) | instid1(VALU_DEP_1)
	v_and_b32_e32 v10, 0x7f, v11
	s_or_b32 s23, s23, exec_lo
	s_or_b32 s22, s22, exec_lo
	s_mov_b32 s24, exec_lo
	v_lshl_add_u32 v12, v10, 2, v26
	ds_load_b32 v20, v12
	s_wait_dscnt 0x0
	v_cmpx_ne_u32_e64 v20, v6
	s_cbranch_execz .LBB42_21
; %bb.23:                               ;   in Loop: Header=BB42_22 Depth=2
	ds_cmpstore_rtn_b32 v12, v12, v6, v8
	s_mov_b32 s26, -1
	s_mov_b32 s27, 0
	s_mov_b32 s25, exec_lo
	s_wait_dscnt 0x0
	v_cmpx_ne_u32_e32 -1, v12
	s_cbranch_execz .LBB42_20
; %bb.24:                               ;   in Loop: Header=BB42_22 Depth=2
	v_add_nc_u32_e32 v10, 1, v11
	s_mov_b32 s30, -1
	s_mov_b32 s27, -1
	s_mov_b32 s26, exec_lo
	s_delay_alu instid0(VALU_DEP_1) | instskip(NEXT) | instid1(VALU_DEP_1)
	v_and_b32_e32 v10, 0x7f, v10
	v_lshl_add_u32 v12, v10, 2, v26
	ds_load_b32 v20, v12
	s_wait_dscnt 0x0
	v_cmpx_ne_u32_e64 v20, v6
	s_cbranch_execz .LBB42_19
; %bb.25:                               ;   in Loop: Header=BB42_22 Depth=2
	ds_cmpstore_rtn_b32 v12, v12, v6, v8
	s_mov_b32 s31, 0
	s_mov_b32 s27, exec_lo
	s_wait_dscnt 0x0
	v_cmpx_ne_u32_e32 -1, v12
	s_cbranch_execz .LBB42_18
; %bb.26:                               ;   in Loop: Header=BB42_22 Depth=2
	v_add_nc_u32_e32 v10, 2, v11
	s_mov_b32 s33, -1
	s_mov_b32 s31, -1
	s_mov_b32 s30, exec_lo
	s_delay_alu instid0(VALU_DEP_1) | instskip(NEXT) | instid1(VALU_DEP_1)
	v_and_b32_e32 v10, 0x7f, v10
	v_lshl_add_u32 v12, v10, 2, v26
	ds_load_b32 v20, v12
	s_wait_dscnt 0x0
	v_cmpx_ne_u32_e64 v20, v6
	s_cbranch_execz .LBB42_17
; %bb.27:                               ;   in Loop: Header=BB42_22 Depth=2
	ds_cmpstore_rtn_b32 v12, v12, v6, v8
	s_mov_b32 s34, 0
	s_mov_b32 s31, exec_lo
	s_wait_dscnt 0x0
	v_cmpx_ne_u32_e32 -1, v12
	s_cbranch_execz .LBB42_16
; %bb.28:                               ;   in Loop: Header=BB42_22 Depth=2
	v_add_nc_u32_e32 v10, 3, v11
	s_mov_b32 s35, -1
	s_mov_b32 s34, -1
	s_delay_alu instid0(VALU_DEP_1) | instskip(NEXT) | instid1(VALU_DEP_1)
	v_and_b32_e32 v10, 0x7f, v10
	v_lshl_add_u32 v12, v10, 2, v26
	ds_load_b32 v11, v12
	s_wait_dscnt 0x0
	v_cmp_ne_u32_e32 vcc_lo, v11, v6
                                        ; implicit-def: $vgpr11
	s_and_saveexec_b32 s33, vcc_lo
	s_cbranch_execz .LBB42_15
; %bb.29:                               ;   in Loop: Header=BB42_22 Depth=2
	ds_cmpstore_rtn_b32 v11, v12, v6, v8
	s_mov_b32 s34, 0
	s_wait_dscnt 0x0
	v_cmp_ne_u32_e32 vcc_lo, -1, v11
                                        ; implicit-def: $vgpr11
	s_and_saveexec_b32 s36, vcc_lo
	s_cbranch_execz .LBB42_14
; %bb.30:                               ;   in Loop: Header=BB42_22 Depth=2
	v_add_nc_u32_e32 v9, -4, v9
	v_add_nc_u32_e32 v11, 1, v10
	s_mov_b32 s34, exec_lo
	s_delay_alu instid0(VALU_DEP_2)
	v_cmp_eq_u32_e32 vcc_lo, 0, v9
	s_or_not1_b32 s35, vcc_lo, exec_lo
	s_branch .LBB42_14
.LBB42_31:                              ;   in Loop: Header=BB42_13 Depth=1
	s_or_b32 exec_lo, exec_lo, s14
	s_xor_b32 s14, s15, -1
	s_delay_alu instid0(SALU_CYCLE_1) | instskip(NEXT) | instid1(SALU_CYCLE_1)
	s_and_saveexec_b32 s15, s14
	s_xor_b32 s14, exec_lo, s15
	s_cbranch_execz .LBB42_12
; %bb.32:                               ;   in Loop: Header=BB42_13 Depth=1
	v_lshl_add_u32 v6, v10, 2, v0
	ds_store_b32 v6, v5
	s_branch .LBB42_12
.LBB42_33:
	s_wait_alu 0xfffe
	s_or_b32 exec_lo, exec_lo, s2
	s_delay_alu instid0(SALU_CYCLE_1)
	s_mov_b32 s3, exec_lo
	s_wait_loadcnt_dscnt 0x0
	global_inv scope:SCOPE_SE
	v_cmpx_lt_i32_e64 v19, v18
	s_cbranch_execz .LBB42_63
; %bb.34:
	v_add_nc_u32_e32 v27, 1, v24
	s_mov_b32 s14, 0
	s_branch .LBB42_37
.LBB42_35:                              ;   in Loop: Header=BB42_37 Depth=1
	s_or_b32 exec_lo, exec_lo, s15
	v_add_nc_u32_e32 v19, 1, v19
	s_delay_alu instid0(VALU_DEP_1)
	v_cmp_ge_i32_e32 vcc_lo, v19, v18
	s_or_not1_b32 s15, vcc_lo, exec_lo
.LBB42_36:                              ;   in Loop: Header=BB42_37 Depth=1
	s_wait_alu 0xfffe
	s_or_b32 exec_lo, exec_lo, s2
	s_delay_alu instid0(SALU_CYCLE_1) | instskip(SKIP_2) | instid1(SALU_CYCLE_1)
	s_and_b32 s2, exec_lo, s15
	s_wait_alu 0xfffe
	s_or_b32 s14, s2, s14
	s_and_not1_b32 exec_lo, exec_lo, s14
	s_cbranch_execz .LBB42_63
.LBB42_37:                              ; =>This Loop Header: Depth=1
                                        ;     Child Loop BB42_38 Depth 2
                                        ;     Child Loop BB42_43 Depth 2
                                        ;       Child Loop BB42_52 Depth 3
	v_ashrrev_i32_e32 v20, 31, v19
	s_mov_b32 s2, 0
	s_delay_alu instid0(VALU_DEP_1) | instskip(SKIP_1) | instid1(VALU_DEP_2)
	v_lshlrev_b64_e32 v[5:6], 2, v[19:20]
	v_lshlrev_b64_e32 v[7:8], 4, v[19:20]
	v_add_co_u32 v5, vcc_lo, s6, v5
	s_wait_alu 0xfffd
	s_delay_alu instid0(VALU_DEP_3) | instskip(NEXT) | instid1(VALU_DEP_3)
	v_add_co_ci_u32_e64 v6, null, s7, v6, vcc_lo
	v_add_co_u32 v20, vcc_lo, s8, v7
	s_wait_alu 0xfffd
	v_add_co_ci_u32_e64 v21, null, s9, v8, vcc_lo
	global_load_b32 v5, v[5:6], off
	s_wait_loadcnt 0x0
	v_subrev_nc_u32_e32 v5, s28, v5
	s_delay_alu instid0(VALU_DEP_1) | instskip(NEXT) | instid1(VALU_DEP_1)
	v_ashrrev_i32_e32 v6, 31, v5
	v_lshlrev_b64_e32 v[9:10], 2, v[5:6]
	s_delay_alu instid0(VALU_DEP_1) | instskip(SKIP_1) | instid1(VALU_DEP_2)
	v_add_co_u32 v11, vcc_lo, s4, v9
	s_wait_alu 0xfffd
	v_add_co_ci_u32_e64 v12, null, s5, v10, vcc_lo
	v_add_co_u32 v22, vcc_lo, s10, v9
	s_wait_alu 0xfffd
	v_add_co_ci_u32_e64 v23, null, s11, v10, vcc_lo
	global_load_b128 v[5:8], v[20:21], off
	global_load_b32 v11, v[11:12], off offset:4
	global_load_b32 v12, v[22:23], off
	v_add_co_u32 v9, vcc_lo, s12, v9
	s_wait_alu 0xfffd
	v_add_co_ci_u32_e64 v10, null, s13, v10, vcc_lo
.LBB42_38:                              ;   Parent Loop BB42_37 Depth=1
                                        ; =>  This Inner Loop Header: Depth=2
	global_load_b32 v22, v[9:10], off scope:SCOPE_DEV
	s_wait_loadcnt 0x0
	v_cmp_ne_u32_e32 vcc_lo, 0, v22
	s_wait_alu 0xfffe
	s_or_b32 s2, vcc_lo, s2
	s_wait_alu 0xfffe
	s_and_not1_b32 exec_lo, exec_lo, s2
	s_cbranch_execnz .LBB42_38
; %bb.39:                               ;   in Loop: Header=BB42_37 Depth=1
	s_or_b32 exec_lo, exec_lo, s2
	v_subrev_nc_u32_e32 v28, s28, v11
	v_cmp_eq_u32_e32 vcc_lo, -1, v12
	global_inv scope:SCOPE_DEV
	s_mov_b32 s15, -1
	v_add_nc_u32_e32 v9, -1, v28
	s_wait_alu 0xfffd
	s_delay_alu instid0(VALU_DEP_1) | instskip(NEXT) | instid1(VALU_DEP_1)
	v_cndmask_b32_e32 v22, v12, v9, vcc_lo
	v_ashrrev_i32_e32 v23, 31, v22
	s_delay_alu instid0(VALU_DEP_1) | instskip(NEXT) | instid1(VALU_DEP_1)
	v_lshlrev_b64_e32 v[9:10], 4, v[22:23]
	v_add_co_u32 v9, vcc_lo, s8, v9
	s_wait_alu 0xfffd
	s_delay_alu instid0(VALU_DEP_2)
	v_add_co_ci_u32_e64 v10, null, s9, v10, vcc_lo
	global_load_b128 v[9:12], v[9:10], off
	s_wait_loadcnt 0x0
	v_cmp_neq_f64_e32 vcc_lo, 0, v[9:10]
	v_cmp_neq_f64_e64 s2, 0, v[11:12]
	s_or_b32 s22, vcc_lo, s2
	s_delay_alu instid0(SALU_CYCLE_1)
	s_and_saveexec_b32 s2, s22
	s_cbranch_execz .LBB42_36
; %bb.40:                               ;   in Loop: Header=BB42_37 Depth=1
	v_mul_f64_e32 v[29:30], v[11:12], v[11:12]
	s_mov_b32 s15, exec_lo
	s_delay_alu instid0(VALU_DEP_1) | instskip(NEXT) | instid1(VALU_DEP_1)
	v_fma_f64 v[29:30], v[9:10], v[9:10], v[29:30]
	v_div_scale_f64 v[31:32], null, v[29:30], v[29:30], 1.0
	v_div_scale_f64 v[37:38], vcc_lo, 1.0, v[29:30], 1.0
	s_delay_alu instid0(VALU_DEP_2) | instskip(NEXT) | instid1(TRANS32_DEP_1)
	v_rcp_f64_e32 v[33:34], v[31:32]
	v_fma_f64 v[35:36], -v[31:32], v[33:34], 1.0
	s_delay_alu instid0(VALU_DEP_1) | instskip(NEXT) | instid1(VALU_DEP_1)
	v_fma_f64 v[33:34], v[33:34], v[35:36], v[33:34]
	v_fma_f64 v[35:36], -v[31:32], v[33:34], 1.0
	s_delay_alu instid0(VALU_DEP_1) | instskip(NEXT) | instid1(VALU_DEP_1)
	v_fma_f64 v[33:34], v[33:34], v[35:36], v[33:34]
	v_mul_f64_e32 v[35:36], v[37:38], v[33:34]
	s_delay_alu instid0(VALU_DEP_1) | instskip(SKIP_3) | instid1(VALU_DEP_3)
	v_fma_f64 v[31:32], -v[31:32], v[35:36], v[37:38]
	v_mul_f64_e32 v[37:38], v[7:8], v[11:12]
	v_mul_f64_e64 v[11:12], v[11:12], -v[5:6]
	s_wait_alu 0xfffd
	v_div_fmas_f64 v[31:32], v[31:32], v[33:34], v[35:36]
	s_delay_alu instid0(VALU_DEP_3) | instskip(NEXT) | instid1(VALU_DEP_3)
	v_fma_f64 v[5:6], v[5:6], v[9:10], v[37:38]
	v_fma_f64 v[7:8], v[7:8], v[9:10], v[11:12]
	v_add_nc_u32_e32 v9, v27, v22
	s_delay_alu instid0(VALU_DEP_4) | instskip(NEXT) | instid1(VALU_DEP_1)
	v_div_fixup_f64 v[29:30], v[31:32], v[29:30], 1.0
	v_mul_f64_e32 v[5:6], v[5:6], v[29:30]
	s_delay_alu instid0(VALU_DEP_4)
	v_mul_f64_e32 v[7:8], v[7:8], v[29:30]
	global_store_b128 v[20:21], v[5:8], off
	v_cmpx_lt_i32_e64 v9, v28
	s_cbranch_execz .LBB42_35
; %bb.41:                               ;   in Loop: Header=BB42_37 Depth=1
	s_mov_b32 s22, 0
	s_branch .LBB42_43
.LBB42_42:                              ;   in Loop: Header=BB42_43 Depth=2
	s_or_b32 exec_lo, exec_lo, s23
	v_add_nc_u32_e32 v9, 32, v9
	s_delay_alu instid0(VALU_DEP_1) | instskip(SKIP_1) | instid1(SALU_CYCLE_1)
	v_cmp_ge_i32_e32 vcc_lo, v9, v28
	s_or_b32 s22, vcc_lo, s22
	s_and_not1_b32 exec_lo, exec_lo, s22
	s_cbranch_execz .LBB42_35
.LBB42_43:                              ;   Parent Loop BB42_37 Depth=1
                                        ; =>  This Loop Header: Depth=2
                                        ;       Child Loop BB42_52 Depth 3
	v_ashrrev_i32_e32 v10, 31, v9
	s_mov_b32 s23, 0
                                        ; implicit-def: $sgpr24
                                        ; implicit-def: $sgpr25
                                        ; implicit-def: $sgpr26
	s_delay_alu instid0(VALU_DEP_1) | instskip(NEXT) | instid1(VALU_DEP_1)
	v_lshlrev_b64_e32 v[11:12], 2, v[9:10]
	v_add_co_u32 v11, vcc_lo, s6, v11
	s_wait_alu 0xfffd
	s_delay_alu instid0(VALU_DEP_2)
	v_add_co_ci_u32_e64 v12, null, s7, v12, vcc_lo
	global_load_b32 v11, v[11:12], off
	v_mov_b32_e32 v12, 0x80
	s_wait_loadcnt 0x0
	v_mul_lo_u32 v21, 0x67, v11
	s_branch .LBB42_52
.LBB42_44:                              ;   in Loop: Header=BB42_52 Depth=3
	s_or_b32 exec_lo, exec_lo, s39
	s_delay_alu instid0(SALU_CYCLE_1)
	s_or_not1_b32 s37, s37, exec_lo
	s_or_not1_b32 s38, s38, exec_lo
.LBB42_45:                              ;   in Loop: Header=BB42_52 Depth=3
	s_or_b32 exec_lo, exec_lo, s36
	s_delay_alu instid0(SALU_CYCLE_1)
	s_and_b32 s37, s37, exec_lo
	s_or_not1_b32 s36, s38, exec_lo
.LBB42_46:                              ;   in Loop: Header=BB42_52 Depth=3
	s_or_b32 exec_lo, exec_lo, s35
	s_delay_alu instid0(SALU_CYCLE_1)
	s_or_not1_b32 s35, s37, exec_lo
	s_or_not1_b32 s36, s36, exec_lo
.LBB42_47:                              ;   in Loop: Header=BB42_52 Depth=3
	s_or_b32 exec_lo, exec_lo, s34
	s_delay_alu instid0(SALU_CYCLE_1)
	s_and_b32 s35, s35, exec_lo
	s_or_not1_b32 s34, s36, exec_lo
.LBB42_48:                              ;   in Loop: Header=BB42_52 Depth=3
	s_or_b32 exec_lo, exec_lo, s33
	s_delay_alu instid0(SALU_CYCLE_1)
	s_or_not1_b32 s33, s35, exec_lo
	s_or_not1_b32 s34, s34, exec_lo
.LBB42_49:                              ;   in Loop: Header=BB42_52 Depth=3
	s_or_b32 exec_lo, exec_lo, s31
	s_delay_alu instid0(SALU_CYCLE_1)
	s_and_b32 s33, s33, exec_lo
	s_or_not1_b32 s31, s34, exec_lo
.LBB42_50:                              ;   in Loop: Header=BB42_52 Depth=3
	s_or_b32 exec_lo, exec_lo, s30
	s_wait_alu 0xfffe
	s_and_not1_b32 s26, s26, exec_lo
	s_and_b32 s30, s33, exec_lo
	s_and_not1_b32 s25, s25, exec_lo
	s_and_b32 s31, s31, exec_lo
	s_wait_alu 0xfffe
	s_or_b32 s26, s26, s30
	s_or_b32 s25, s25, s31
.LBB42_51:                              ;   in Loop: Header=BB42_52 Depth=3
	s_wait_alu 0xfffe
	s_or_b32 exec_lo, exec_lo, s27
	s_delay_alu instid0(SALU_CYCLE_1)
	s_and_b32 s27, exec_lo, s25
	s_wait_alu 0xfffe
	s_or_b32 s23, s27, s23
	s_and_not1_b32 s24, s24, exec_lo
	s_and_b32 s27, s26, exec_lo
	s_wait_alu 0xfffe
	s_or_b32 s24, s24, s27
	s_and_not1_b32 exec_lo, exec_lo, s23
	s_cbranch_execz .LBB42_61
.LBB42_52:                              ;   Parent Loop BB42_37 Depth=1
                                        ;     Parent Loop BB42_43 Depth=2
                                        ; =>    This Inner Loop Header: Depth=3
	s_delay_alu instid0(VALU_DEP_1) | instskip(SKIP_3) | instid1(VALU_DEP_1)
	v_and_b32_e32 v20, 0x7f, v21
	s_or_b32 s26, s26, exec_lo
	s_or_b32 s25, s25, exec_lo
	s_mov_b32 s27, exec_lo
	v_lshl_add_u32 v22, v20, 2, v26
	ds_load_b32 v22, v22
	s_wait_dscnt 0x0
	v_cmpx_ne_u32_e32 -1, v22
	s_cbranch_execz .LBB42_51
; %bb.53:                               ;   in Loop: Header=BB42_52 Depth=3
	s_mov_b32 s31, -1
	s_mov_b32 s33, 0
	s_mov_b32 s30, exec_lo
	v_cmpx_ne_u32_e64 v22, v11
	s_cbranch_execz .LBB42_50
; %bb.54:                               ;   in Loop: Header=BB42_52 Depth=3
	v_add_nc_u32_e32 v20, 1, v21
	s_mov_b32 s34, -1
	s_mov_b32 s33, -1
	s_mov_b32 s31, exec_lo
	s_delay_alu instid0(VALU_DEP_1) | instskip(NEXT) | instid1(VALU_DEP_1)
	v_and_b32_e32 v20, 0x7f, v20
	v_lshl_add_u32 v22, v20, 2, v26
	ds_load_b32 v22, v22
	s_wait_dscnt 0x0
	v_cmpx_ne_u32_e32 -1, v22
	s_cbranch_execz .LBB42_49
; %bb.55:                               ;   in Loop: Header=BB42_52 Depth=3
	s_mov_b32 s35, 0
	s_mov_b32 s33, exec_lo
	v_cmpx_ne_u32_e64 v22, v11
	s_cbranch_execz .LBB42_48
; %bb.56:                               ;   in Loop: Header=BB42_52 Depth=3
	v_add_nc_u32_e32 v20, 2, v21
	s_mov_b32 s36, -1
	s_mov_b32 s35, -1
	s_mov_b32 s34, exec_lo
	s_delay_alu instid0(VALU_DEP_1) | instskip(NEXT) | instid1(VALU_DEP_1)
	v_and_b32_e32 v20, 0x7f, v20
	v_lshl_add_u32 v22, v20, 2, v26
	ds_load_b32 v22, v22
	s_wait_dscnt 0x0
	v_cmpx_ne_u32_e32 -1, v22
	s_cbranch_execz .LBB42_47
; %bb.57:                               ;   in Loop: Header=BB42_52 Depth=3
	s_mov_b32 s37, 0
	s_mov_b32 s35, exec_lo
	v_cmpx_ne_u32_e64 v22, v11
	s_cbranch_execz .LBB42_46
; %bb.58:                               ;   in Loop: Header=BB42_52 Depth=3
	v_add_nc_u32_e32 v20, 3, v21
	s_mov_b32 s38, -1
	s_mov_b32 s37, -1
	s_mov_b32 s36, exec_lo
	s_delay_alu instid0(VALU_DEP_1) | instskip(NEXT) | instid1(VALU_DEP_1)
	v_and_b32_e32 v20, 0x7f, v20
	v_lshl_add_u32 v21, v20, 2, v26
	ds_load_b32 v22, v21
                                        ; implicit-def: $vgpr21
	s_wait_dscnt 0x0
	v_cmpx_ne_u32_e32 -1, v22
	s_cbranch_execz .LBB42_45
; %bb.59:                               ;   in Loop: Header=BB42_52 Depth=3
	s_mov_b32 s37, 0
	s_mov_b32 s39, exec_lo
                                        ; implicit-def: $vgpr21
	v_cmpx_ne_u32_e64 v22, v11
	s_cbranch_execz .LBB42_44
; %bb.60:                               ;   in Loop: Header=BB42_52 Depth=3
	v_add_nc_u32_e32 v12, -4, v12
	v_add_nc_u32_e32 v21, 1, v20
	s_mov_b32 s37, exec_lo
	s_delay_alu instid0(VALU_DEP_2)
	v_cmp_eq_u32_e32 vcc_lo, 0, v12
	s_or_not1_b32 s38, vcc_lo, exec_lo
	s_branch .LBB42_44
.LBB42_61:                              ;   in Loop: Header=BB42_43 Depth=2
	s_or_b32 exec_lo, exec_lo, s23
	s_wait_alu 0xfffe
	s_xor_b32 s23, s24, -1
	s_delay_alu instid0(SALU_CYCLE_1)
	s_and_saveexec_b32 s24, s23
	s_wait_alu 0xfffe
	s_xor_b32 s23, exec_lo, s24
	s_cbranch_execz .LBB42_42
; %bb.62:                               ;   in Loop: Header=BB42_43 Depth=2
	v_lshl_add_u32 v11, v20, 2, v0
	v_lshlrev_b64_e32 v[20:21], 4, v[9:10]
	ds_load_b32 v11, v11
	v_add_co_u32 v20, vcc_lo, s8, v20
	s_wait_alu 0xfffd
	v_add_co_ci_u32_e64 v21, null, s9, v21, vcc_lo
	s_wait_dscnt 0x0
	v_ashrrev_i32_e32 v12, 31, v11
	s_delay_alu instid0(VALU_DEP_1) | instskip(NEXT) | instid1(VALU_DEP_1)
	v_lshlrev_b64_e32 v[10:11], 4, v[11:12]
	v_add_co_u32 v10, vcc_lo, s8, v10
	s_wait_alu 0xfffd
	s_delay_alu instid0(VALU_DEP_2)
	v_add_co_ci_u32_e64 v11, null, s9, v11, vcc_lo
	s_clause 0x1
	global_load_b128 v[20:23], v[20:21], off
	global_load_b128 v[29:32], v[10:11], off
	s_wait_loadcnt 0x0
	v_fma_f64 v[29:30], -v[5:6], v[20:21], v[29:30]
	v_fma_f64 v[31:32], -v[7:8], v[20:21], v[31:32]
	s_delay_alu instid0(VALU_DEP_2) | instskip(NEXT) | instid1(VALU_DEP_2)
	v_fma_f64 v[20:21], v[7:8], v[22:23], v[29:30]
	v_fma_f64 v[22:23], -v[5:6], v[22:23], v[31:32]
	global_store_b128 v[10:11], v[20:23], off
	s_branch .LBB42_42
.LBB42_63:
	s_wait_alu 0xfffe
	s_or_b32 exec_lo, exec_lo, s3
	s_delay_alu instid0(SALU_CYCLE_1)
	s_mov_b32 s3, exec_lo
	s_wait_loadcnt 0x0
	s_wait_storecnt 0x0
	global_inv scope:SCOPE_SE
	v_cmpx_lt_i32_e32 -1, v18
	s_cbranch_execz .LBB42_85
; %bb.64:
	v_mov_b32_e32 v19, 0
	s_mov_b32 s2, exec_lo
	s_delay_alu instid0(VALU_DEP_1) | instskip(NEXT) | instid1(VALU_DEP_1)
	v_lshlrev_b64_e32 v[5:6], 4, v[18:19]
	v_add_co_u32 v9, vcc_lo, s8, v5
	s_wait_alu 0xfffd
	s_delay_alu instid0(VALU_DEP_2)
	v_add_co_ci_u32_e64 v10, null, s9, v6, vcc_lo
	global_load_b128 v[5:8], v[9:10], off
	s_wait_loadcnt 0x0
	v_cmp_gt_f64_e32 vcc_lo, 0, v[5:6]
	v_xor_b32_e32 v0, 0x80000000, v6
	v_xor_b32_e32 v18, 0x80000000, v8
	v_dual_mov_b32 v11, v5 :: v_dual_mov_b32 v20, v7
	s_wait_alu 0xfffd
	s_delay_alu instid0(VALU_DEP_3) | instskip(SKIP_3) | instid1(VALU_DEP_1)
	v_cndmask_b32_e32 v12, v6, v0, vcc_lo
	v_cmp_gt_f64_e32 vcc_lo, 0, v[7:8]
	s_wait_alu 0xfffd
	v_cndmask_b32_e32 v21, v8, v18, vcc_lo
                                        ; implicit-def: $vgpr18_vgpr19
	v_cmpx_ngt_f64_e32 v[11:12], v[20:21]
	s_wait_alu 0xfffe
	s_xor_b32 s2, exec_lo, s2
	s_cbranch_execz .LBB42_68
; %bb.65:
	v_mov_b32_e32 v18, 0
	v_mov_b32_e32 v19, 0
	s_mov_b32 s4, exec_lo
	v_cmpx_neq_f64_e32 0, v[7:8]
	s_cbranch_execz .LBB42_67
; %bb.66:
	v_div_scale_f64 v[18:19], null, v[20:21], v[20:21], v[11:12]
	v_div_scale_f64 v[28:29], vcc_lo, v[11:12], v[20:21], v[11:12]
	s_delay_alu instid0(VALU_DEP_2) | instskip(NEXT) | instid1(TRANS32_DEP_1)
	v_rcp_f64_e32 v[22:23], v[18:19]
	v_fma_f64 v[26:27], -v[18:19], v[22:23], 1.0
	s_delay_alu instid0(VALU_DEP_1) | instskip(NEXT) | instid1(VALU_DEP_1)
	v_fma_f64 v[22:23], v[22:23], v[26:27], v[22:23]
	v_fma_f64 v[26:27], -v[18:19], v[22:23], 1.0
	s_delay_alu instid0(VALU_DEP_1) | instskip(NEXT) | instid1(VALU_DEP_1)
	v_fma_f64 v[22:23], v[22:23], v[26:27], v[22:23]
	v_mul_f64_e32 v[26:27], v[28:29], v[22:23]
	s_delay_alu instid0(VALU_DEP_1) | instskip(SKIP_1) | instid1(VALU_DEP_1)
	v_fma_f64 v[18:19], -v[18:19], v[26:27], v[28:29]
	s_wait_alu 0xfffd
	v_div_fmas_f64 v[18:19], v[18:19], v[22:23], v[26:27]
	s_delay_alu instid0(VALU_DEP_1) | instskip(NEXT) | instid1(VALU_DEP_1)
	v_div_fixup_f64 v[11:12], v[18:19], v[20:21], v[11:12]
	v_fma_f64 v[11:12], v[11:12], v[11:12], 1.0
	s_delay_alu instid0(VALU_DEP_1) | instskip(SKIP_2) | instid1(VALU_DEP_1)
	v_cmp_gt_f64_e32 vcc_lo, 0x10000000, v[11:12]
	s_wait_alu 0xfffd
	v_cndmask_b32_e64 v0, 0, 0x100, vcc_lo
	v_ldexp_f64 v[11:12], v[11:12], v0
	v_cndmask_b32_e64 v0, 0, 0xffffff80, vcc_lo
	s_delay_alu instid0(VALU_DEP_2) | instskip(SKIP_1) | instid1(TRANS32_DEP_1)
	v_rsq_f64_e32 v[18:19], v[11:12]
	v_cmp_class_f64_e64 vcc_lo, v[11:12], 0x260
	v_mul_f64_e32 v[22:23], v[11:12], v[18:19]
	v_mul_f64_e32 v[18:19], 0.5, v[18:19]
	s_delay_alu instid0(VALU_DEP_1) | instskip(NEXT) | instid1(VALU_DEP_1)
	v_fma_f64 v[26:27], -v[18:19], v[22:23], 0.5
	v_fma_f64 v[22:23], v[22:23], v[26:27], v[22:23]
	v_fma_f64 v[18:19], v[18:19], v[26:27], v[18:19]
	s_delay_alu instid0(VALU_DEP_2) | instskip(NEXT) | instid1(VALU_DEP_1)
	v_fma_f64 v[26:27], -v[22:23], v[22:23], v[11:12]
	v_fma_f64 v[22:23], v[26:27], v[18:19], v[22:23]
	s_delay_alu instid0(VALU_DEP_1) | instskip(NEXT) | instid1(VALU_DEP_1)
	v_fma_f64 v[26:27], -v[22:23], v[22:23], v[11:12]
	v_fma_f64 v[18:19], v[26:27], v[18:19], v[22:23]
	s_delay_alu instid0(VALU_DEP_1) | instskip(SKIP_1) | instid1(VALU_DEP_1)
	v_ldexp_f64 v[18:19], v[18:19], v0
	s_wait_alu 0xfffd
	v_dual_cndmask_b32 v12, v19, v12 :: v_dual_cndmask_b32 v11, v18, v11
	s_delay_alu instid0(VALU_DEP_1)
	v_mul_f64_e32 v[18:19], v[20:21], v[11:12]
.LBB42_67:
	s_wait_alu 0xfffe
	s_or_b32 exec_lo, exec_lo, s4
                                        ; implicit-def: $vgpr11_vgpr12
                                        ; implicit-def: $vgpr20_vgpr21
.LBB42_68:
	s_wait_alu 0xfffe
	s_and_not1_saveexec_b32 s2, s2
	s_cbranch_execz .LBB42_70
; %bb.69:
	v_div_scale_f64 v[18:19], null, v[11:12], v[11:12], v[20:21]
	v_div_scale_f64 v[28:29], vcc_lo, v[20:21], v[11:12], v[20:21]
	s_delay_alu instid0(VALU_DEP_2) | instskip(NEXT) | instid1(TRANS32_DEP_1)
	v_rcp_f64_e32 v[22:23], v[18:19]
	v_fma_f64 v[26:27], -v[18:19], v[22:23], 1.0
	s_delay_alu instid0(VALU_DEP_1) | instskip(NEXT) | instid1(VALU_DEP_1)
	v_fma_f64 v[22:23], v[22:23], v[26:27], v[22:23]
	v_fma_f64 v[26:27], -v[18:19], v[22:23], 1.0
	s_delay_alu instid0(VALU_DEP_1) | instskip(NEXT) | instid1(VALU_DEP_1)
	v_fma_f64 v[22:23], v[22:23], v[26:27], v[22:23]
	v_mul_f64_e32 v[26:27], v[28:29], v[22:23]
	s_delay_alu instid0(VALU_DEP_1) | instskip(SKIP_1) | instid1(VALU_DEP_1)
	v_fma_f64 v[18:19], -v[18:19], v[26:27], v[28:29]
	s_wait_alu 0xfffd
	v_div_fmas_f64 v[18:19], v[18:19], v[22:23], v[26:27]
	s_delay_alu instid0(VALU_DEP_1) | instskip(NEXT) | instid1(VALU_DEP_1)
	v_div_fixup_f64 v[18:19], v[18:19], v[11:12], v[20:21]
	v_fma_f64 v[18:19], v[18:19], v[18:19], 1.0
	s_delay_alu instid0(VALU_DEP_1) | instskip(SKIP_2) | instid1(VALU_DEP_1)
	v_cmp_gt_f64_e32 vcc_lo, 0x10000000, v[18:19]
	s_wait_alu 0xfffd
	v_cndmask_b32_e64 v0, 0, 0x100, vcc_lo
	v_ldexp_f64 v[18:19], v[18:19], v0
	v_cndmask_b32_e64 v0, 0, 0xffffff80, vcc_lo
	s_delay_alu instid0(VALU_DEP_2) | instskip(SKIP_1) | instid1(TRANS32_DEP_1)
	v_rsq_f64_e32 v[20:21], v[18:19]
	v_cmp_class_f64_e64 vcc_lo, v[18:19], 0x260
	v_mul_f64_e32 v[22:23], v[18:19], v[20:21]
	v_mul_f64_e32 v[20:21], 0.5, v[20:21]
	s_delay_alu instid0(VALU_DEP_1) | instskip(NEXT) | instid1(VALU_DEP_1)
	v_fma_f64 v[26:27], -v[20:21], v[22:23], 0.5
	v_fma_f64 v[22:23], v[22:23], v[26:27], v[22:23]
	v_fma_f64 v[20:21], v[20:21], v[26:27], v[20:21]
	s_delay_alu instid0(VALU_DEP_2) | instskip(NEXT) | instid1(VALU_DEP_1)
	v_fma_f64 v[26:27], -v[22:23], v[22:23], v[18:19]
	v_fma_f64 v[22:23], v[26:27], v[20:21], v[22:23]
	s_delay_alu instid0(VALU_DEP_1) | instskip(NEXT) | instid1(VALU_DEP_1)
	v_fma_f64 v[26:27], -v[22:23], v[22:23], v[18:19]
	v_fma_f64 v[20:21], v[26:27], v[20:21], v[22:23]
	s_delay_alu instid0(VALU_DEP_1) | instskip(SKIP_1) | instid1(VALU_DEP_1)
	v_ldexp_f64 v[20:21], v[20:21], v0
	s_wait_alu 0xfffd
	v_dual_cndmask_b32 v19, v21, v19 :: v_dual_cndmask_b32 v18, v20, v18
	s_delay_alu instid0(VALU_DEP_1)
	v_mul_f64_e32 v[18:19], v[11:12], v[18:19]
.LBB42_70:
	s_wait_alu 0xfffe
	s_or_b32 exec_lo, exec_lo, s2
	v_cmp_ne_u32_e32 vcc_lo, 1, v25
	v_cmp_eq_u32_e64 s2, 0, v24
	s_mov_b32 s4, -1
	s_cbranch_vccnz .LBB42_74
; %bb.71:
	v_cvt_f64_f32_e32 v[11:12], s29
	s_cmp_eq_u64 s[20:21], 8
	s_cselect_b32 vcc_lo, -1, 0
	s_wait_alu 0xfffe
	s_delay_alu instid0(VALU_DEP_1) | instskip(NEXT) | instid1(VALU_DEP_1)
	v_dual_cndmask_b32 v12, v12, v16 :: v_dual_cndmask_b32 v11, v11, v15
	v_cmp_le_f64_e32 vcc_lo, v[18:19], v[11:12]
	s_and_b32 s5, s2, vcc_lo
	s_wait_alu 0xfffe
	s_and_saveexec_b32 s4, s5
	s_cbranch_execz .LBB42_73
; %bb.72:
	global_store_b128 v[9:10], v[1:4], off
	s_wait_storecnt 0x0
	global_inv scope:SCOPE_DEV
.LBB42_73:
	s_wait_alu 0xfffe
	s_or_b32 exec_lo, exec_lo, s4
	s_mov_b32 s4, 0
.LBB42_74:
	s_wait_alu 0xfffe
	s_and_not1_b32 vcc_lo, exec_lo, s4
	s_wait_alu 0xfffe
	s_cbranch_vccnz .LBB42_85
; %bb.75:
	s_load_b64 s[0:1], s[0:1], 0x48
	v_add_nc_u32_e32 v0, s28, v17
	s_wait_kmcnt 0x0
	v_cmp_ge_f64_e32 vcc_lo, s[0:1], v[18:19]
	s_and_b32 s1, s2, vcc_lo
	s_wait_alu 0xfffe
	s_and_saveexec_b32 s0, s1
	s_cbranch_execz .LBB42_80
; %bb.76:
	s_mov_b32 s4, exec_lo
	s_brev_b32 s1, -2
.LBB42_77:                              ; =>This Inner Loop Header: Depth=1
	s_wait_alu 0xfffe
	s_ctz_i32_b32 s5, s4
	s_wait_alu 0xfffe
	v_readlane_b32 s6, v0, s5
	s_lshl_b32 s5, 1, s5
	s_wait_alu 0xfffe
	s_and_not1_b32 s4, s4, s5
	s_min_i32 s1, s1, s6
	s_wait_alu 0xfffe
	s_cmp_lg_u32 s4, 0
	s_cbranch_scc1 .LBB42_77
; %bb.78:
	v_mbcnt_lo_u32_b32 v1, exec_lo, 0
	s_mov_b32 s4, exec_lo
	s_delay_alu instid0(VALU_DEP_1)
	v_cmpx_eq_u32_e32 0, v1
	s_wait_alu 0xfffe
	s_xor_b32 s4, exec_lo, s4
	s_cbranch_execz .LBB42_80
; %bb.79:
	v_dual_mov_b32 v1, 0 :: v_dual_mov_b32 v2, s1
	global_atomic_min_i32 v1, v2, s[18:19] scope:SCOPE_DEV
.LBB42_80:
	s_wait_alu 0xfffe
	s_or_b32 exec_lo, exec_lo, s0
	v_cmp_eq_f64_e32 vcc_lo, 0, v[5:6]
	v_cmp_eq_f64_e64 s0, 0, v[7:8]
	s_and_b32 s0, vcc_lo, s0
	s_wait_alu 0xfffe
	s_and_b32 s0, s2, s0
	s_wait_alu 0xfffe
	s_and_b32 exec_lo, exec_lo, s0
	s_cbranch_execz .LBB42_85
; %bb.81:
	s_mov_b32 s1, exec_lo
	s_brev_b32 s0, -2
.LBB42_82:                              ; =>This Inner Loop Header: Depth=1
	s_wait_alu 0xfffe
	s_ctz_i32_b32 s2, s1
	s_wait_alu 0xfffe
	v_readlane_b32 s4, v0, s2
	s_lshl_b32 s2, 1, s2
	s_wait_alu 0xfffe
	s_and_not1_b32 s1, s1, s2
	s_min_i32 s0, s0, s4
	s_wait_alu 0xfffe
	s_cmp_lg_u32 s1, 0
	s_cbranch_scc1 .LBB42_82
; %bb.83:
	v_mbcnt_lo_u32_b32 v0, exec_lo, 0
	s_mov_b32 s1, exec_lo
	s_delay_alu instid0(VALU_DEP_1)
	v_cmpx_eq_u32_e32 0, v0
	s_wait_alu 0xfffe
	s_xor_b32 s1, exec_lo, s1
	s_cbranch_execz .LBB42_85
; %bb.84:
	v_dual_mov_b32 v0, 0 :: v_dual_mov_b32 v1, s0
	global_atomic_min_i32 v0, v1, s[16:17] scope:SCOPE_DEV
.LBB42_85:
	s_wait_alu 0xfffe
	s_or_b32 exec_lo, exec_lo, s3
	v_cmp_eq_u32_e32 vcc_lo, 0, v24
	s_wait_loadcnt 0x0
	s_wait_storecnt 0x0
	global_inv scope:SCOPE_DEV
	s_and_b32 exec_lo, exec_lo, vcc_lo
	s_cbranch_execz .LBB42_87
; %bb.86:
	v_add_co_u32 v0, vcc_lo, s12, v13
	s_wait_alu 0xfffd
	v_add_co_ci_u32_e64 v1, null, s13, v14, vcc_lo
	v_mov_b32_e32 v2, 1
	s_wait_loadcnt 0x0
	global_store_b32 v[0:1], v2, off scope:SCOPE_DEV
.LBB42_87:
	s_endpgm
	.section	.rodata,"a",@progbits
	.p2align	6, 0x0
	.amdhsa_kernel _ZN9rocsparseL12csrilu0_hashILj256ELj32ELj4E21rocsparse_complex_numIdEEEviPKiS4_PT2_S4_PiS4_S7_S7_d21rocsparse_index_base_imNS_24const_host_device_scalarIfEENS9_IdEENS9_IS5_EEb
		.amdhsa_group_segment_fixed_size 8192
		.amdhsa_private_segment_fixed_size 16
		.amdhsa_kernarg_size 132
		.amdhsa_user_sgpr_count 2
		.amdhsa_user_sgpr_dispatch_ptr 0
		.amdhsa_user_sgpr_queue_ptr 0
		.amdhsa_user_sgpr_kernarg_segment_ptr 1
		.amdhsa_user_sgpr_dispatch_id 0
		.amdhsa_user_sgpr_private_segment_size 0
		.amdhsa_wavefront_size32 1
		.amdhsa_uses_dynamic_stack 0
		.amdhsa_enable_private_segment 1
		.amdhsa_system_sgpr_workgroup_id_x 1
		.amdhsa_system_sgpr_workgroup_id_y 0
		.amdhsa_system_sgpr_workgroup_id_z 0
		.amdhsa_system_sgpr_workgroup_info 0
		.amdhsa_system_vgpr_workitem_id 0
		.amdhsa_next_free_vgpr 39
		.amdhsa_next_free_sgpr 40
		.amdhsa_reserve_vcc 1
		.amdhsa_float_round_mode_32 0
		.amdhsa_float_round_mode_16_64 0
		.amdhsa_float_denorm_mode_32 3
		.amdhsa_float_denorm_mode_16_64 3
		.amdhsa_fp16_overflow 0
		.amdhsa_workgroup_processor_mode 1
		.amdhsa_memory_ordered 1
		.amdhsa_forward_progress 1
		.amdhsa_inst_pref_size 33
		.amdhsa_round_robin_scheduling 0
		.amdhsa_exception_fp_ieee_invalid_op 0
		.amdhsa_exception_fp_denorm_src 0
		.amdhsa_exception_fp_ieee_div_zero 0
		.amdhsa_exception_fp_ieee_overflow 0
		.amdhsa_exception_fp_ieee_underflow 0
		.amdhsa_exception_fp_ieee_inexact 0
		.amdhsa_exception_int_div_zero 0
	.end_amdhsa_kernel
	.section	.text._ZN9rocsparseL12csrilu0_hashILj256ELj32ELj4E21rocsparse_complex_numIdEEEviPKiS4_PT2_S4_PiS4_S7_S7_d21rocsparse_index_base_imNS_24const_host_device_scalarIfEENS9_IdEENS9_IS5_EEb,"axG",@progbits,_ZN9rocsparseL12csrilu0_hashILj256ELj32ELj4E21rocsparse_complex_numIdEEEviPKiS4_PT2_S4_PiS4_S7_S7_d21rocsparse_index_base_imNS_24const_host_device_scalarIfEENS9_IdEENS9_IS5_EEb,comdat
.Lfunc_end42:
	.size	_ZN9rocsparseL12csrilu0_hashILj256ELj32ELj4E21rocsparse_complex_numIdEEEviPKiS4_PT2_S4_PiS4_S7_S7_d21rocsparse_index_base_imNS_24const_host_device_scalarIfEENS9_IdEENS9_IS5_EEb, .Lfunc_end42-_ZN9rocsparseL12csrilu0_hashILj256ELj32ELj4E21rocsparse_complex_numIdEEEviPKiS4_PT2_S4_PiS4_S7_S7_d21rocsparse_index_base_imNS_24const_host_device_scalarIfEENS9_IdEENS9_IS5_EEb
                                        ; -- End function
	.set _ZN9rocsparseL12csrilu0_hashILj256ELj32ELj4E21rocsparse_complex_numIdEEEviPKiS4_PT2_S4_PiS4_S7_S7_d21rocsparse_index_base_imNS_24const_host_device_scalarIfEENS9_IdEENS9_IS5_EEb.num_vgpr, 39
	.set _ZN9rocsparseL12csrilu0_hashILj256ELj32ELj4E21rocsparse_complex_numIdEEEviPKiS4_PT2_S4_PiS4_S7_S7_d21rocsparse_index_base_imNS_24const_host_device_scalarIfEENS9_IdEENS9_IS5_EEb.num_agpr, 0
	.set _ZN9rocsparseL12csrilu0_hashILj256ELj32ELj4E21rocsparse_complex_numIdEEEviPKiS4_PT2_S4_PiS4_S7_S7_d21rocsparse_index_base_imNS_24const_host_device_scalarIfEENS9_IdEENS9_IS5_EEb.numbered_sgpr, 40
	.set _ZN9rocsparseL12csrilu0_hashILj256ELj32ELj4E21rocsparse_complex_numIdEEEviPKiS4_PT2_S4_PiS4_S7_S7_d21rocsparse_index_base_imNS_24const_host_device_scalarIfEENS9_IdEENS9_IS5_EEb.num_named_barrier, 0
	.set _ZN9rocsparseL12csrilu0_hashILj256ELj32ELj4E21rocsparse_complex_numIdEEEviPKiS4_PT2_S4_PiS4_S7_S7_d21rocsparse_index_base_imNS_24const_host_device_scalarIfEENS9_IdEENS9_IS5_EEb.private_seg_size, 16
	.set _ZN9rocsparseL12csrilu0_hashILj256ELj32ELj4E21rocsparse_complex_numIdEEEviPKiS4_PT2_S4_PiS4_S7_S7_d21rocsparse_index_base_imNS_24const_host_device_scalarIfEENS9_IdEENS9_IS5_EEb.uses_vcc, 1
	.set _ZN9rocsparseL12csrilu0_hashILj256ELj32ELj4E21rocsparse_complex_numIdEEEviPKiS4_PT2_S4_PiS4_S7_S7_d21rocsparse_index_base_imNS_24const_host_device_scalarIfEENS9_IdEENS9_IS5_EEb.uses_flat_scratch, 0
	.set _ZN9rocsparseL12csrilu0_hashILj256ELj32ELj4E21rocsparse_complex_numIdEEEviPKiS4_PT2_S4_PiS4_S7_S7_d21rocsparse_index_base_imNS_24const_host_device_scalarIfEENS9_IdEENS9_IS5_EEb.has_dyn_sized_stack, 0
	.set _ZN9rocsparseL12csrilu0_hashILj256ELj32ELj4E21rocsparse_complex_numIdEEEviPKiS4_PT2_S4_PiS4_S7_S7_d21rocsparse_index_base_imNS_24const_host_device_scalarIfEENS9_IdEENS9_IS5_EEb.has_recursion, 0
	.set _ZN9rocsparseL12csrilu0_hashILj256ELj32ELj4E21rocsparse_complex_numIdEEEviPKiS4_PT2_S4_PiS4_S7_S7_d21rocsparse_index_base_imNS_24const_host_device_scalarIfEENS9_IdEENS9_IS5_EEb.has_indirect_call, 0
	.section	.AMDGPU.csdata,"",@progbits
; Kernel info:
; codeLenInByte = 4140
; TotalNumSgprs: 42
; NumVgprs: 39
; ScratchSize: 16
; MemoryBound: 0
; FloatMode: 240
; IeeeMode: 1
; LDSByteSize: 8192 bytes/workgroup (compile time only)
; SGPRBlocks: 0
; VGPRBlocks: 4
; NumSGPRsForWavesPerEU: 42
; NumVGPRsForWavesPerEU: 39
; Occupancy: 16
; WaveLimiterHint : 1
; COMPUTE_PGM_RSRC2:SCRATCH_EN: 1
; COMPUTE_PGM_RSRC2:USER_SGPR: 2
; COMPUTE_PGM_RSRC2:TRAP_HANDLER: 0
; COMPUTE_PGM_RSRC2:TGID_X_EN: 1
; COMPUTE_PGM_RSRC2:TGID_Y_EN: 0
; COMPUTE_PGM_RSRC2:TGID_Z_EN: 0
; COMPUTE_PGM_RSRC2:TIDIG_COMP_CNT: 0
	.section	.text._ZN9rocsparseL12csrilu0_hashILj256ELj32ELj8E21rocsparse_complex_numIdEEEviPKiS4_PT2_S4_PiS4_S7_S7_d21rocsparse_index_base_imNS_24const_host_device_scalarIfEENS9_IdEENS9_IS5_EEb,"axG",@progbits,_ZN9rocsparseL12csrilu0_hashILj256ELj32ELj8E21rocsparse_complex_numIdEEEviPKiS4_PT2_S4_PiS4_S7_S7_d21rocsparse_index_base_imNS_24const_host_device_scalarIfEENS9_IdEENS9_IS5_EEb,comdat
	.globl	_ZN9rocsparseL12csrilu0_hashILj256ELj32ELj8E21rocsparse_complex_numIdEEEviPKiS4_PT2_S4_PiS4_S7_S7_d21rocsparse_index_base_imNS_24const_host_device_scalarIfEENS9_IdEENS9_IS5_EEb ; -- Begin function _ZN9rocsparseL12csrilu0_hashILj256ELj32ELj8E21rocsparse_complex_numIdEEEviPKiS4_PT2_S4_PiS4_S7_S7_d21rocsparse_index_base_imNS_24const_host_device_scalarIfEENS9_IdEENS9_IS5_EEb
	.p2align	8
	.type	_ZN9rocsparseL12csrilu0_hashILj256ELj32ELj8E21rocsparse_complex_numIdEEEviPKiS4_PT2_S4_PiS4_S7_S7_d21rocsparse_index_base_imNS_24const_host_device_scalarIfEENS9_IdEENS9_IS5_EEb,@function
_ZN9rocsparseL12csrilu0_hashILj256ELj32ELj8E21rocsparse_complex_numIdEEEviPKiS4_PT2_S4_PiS4_S7_S7_d21rocsparse_index_base_imNS_24const_host_device_scalarIfEENS9_IdEENS9_IS5_EEb: ; @_ZN9rocsparseL12csrilu0_hashILj256ELj32ELj8E21rocsparse_complex_numIdEEEviPKiS4_PT2_S4_PiS4_S7_S7_d21rocsparse_index_base_imNS_24const_host_device_scalarIfEENS9_IdEENS9_IS5_EEb
; %bb.0:
	s_clause 0x2
	s_load_b96 s[4:6], s[0:1], 0x78
	s_load_b64 s[28:29], s[0:1], 0x50
	s_load_b256 s[20:27], s[0:1], 0x58
	s_wait_kmcnt 0x0
	s_bitcmp1_b32 s6, 0
	s_cselect_b32 s6, -1, 0
	s_cmp_eq_u32 s29, 0
	v_dual_mov_b32 v1, s26 :: v_dual_mov_b32 v2, s27
	s_cselect_b32 s2, -1, 0
	s_cmp_lg_u32 s29, 0
	s_cselect_b32 s7, -1, 0
	s_or_b32 s9, s2, s6
	scratch_store_b64 off, v[1:2], off
	s_xor_b32 s8, s9, -1
	s_and_b32 s2, s2, exec_lo
	s_cselect_b32 s3, 0, s25
	s_cselect_b32 s2, 0, s24
	;; [unrolled: 1-line block ×3, first 2 shown]
	s_and_b32 vcc_lo, exec_lo, s9
	s_cbranch_vccnz .LBB43_2
; %bb.1:
	s_load_b32 s29, s[22:23], 0x0
	s_mov_b64 s[2:3], s[24:25]
.LBB43_2:
	s_delay_alu instid0(SALU_CYCLE_1)
	v_dual_mov_b32 v16, s3 :: v_dual_mov_b32 v15, s2
	s_and_not1_b32 vcc_lo, exec_lo, s8
	s_cbranch_vccnz .LBB43_4
; %bb.3:
	v_dual_mov_b32 v1, s24 :: v_dual_mov_b32 v2, s25
	flat_load_b64 v[15:16], v[1:2]
.LBB43_4:
	v_mov_b32_e32 v3, 0
	v_dual_mov_b32 v4, 0 :: v_dual_mov_b32 v1, 0
	v_cndmask_b32_e64 v25, 0, 1, s7
	v_mov_b32_e32 v2, 0
	s_and_not1_b32 vcc_lo, exec_lo, s7
	s_cbranch_vccnz .LBB43_7
; %bb.5:
	s_mov_b64 s[2:3], src_private_base
	s_xor_b32 s2, s6, -1
	s_and_b32 s6, s6, exec_lo
	s_cselect_b32 s6, 0, s26
	s_wait_alu 0xfffe
	s_cselect_b32 s3, s3, s27
	s_wait_alu 0xfffe
	v_dual_mov_b32 v1, s6 :: v_dual_mov_b32 v2, s3
	v_dual_mov_b32 v3, s4 :: v_dual_mov_b32 v4, s5
	s_and_not1_b32 vcc_lo, exec_lo, s2
	flat_load_b64 v[1:2], v[1:2]
	s_cbranch_vccnz .LBB43_7
; %bb.6:
	v_dual_mov_b32 v3, s26 :: v_dual_mov_b32 v4, s27
	flat_load_b64 v[3:4], v[3:4] offset:8
.LBB43_7:
	v_lshrrev_b32_e32 v5, 5, v0
	v_and_b32_e32 v24, 31, v0
	s_mov_b32 s2, 0
	s_delay_alu instid0(VALU_DEP_2) | instskip(NEXT) | instid1(VALU_DEP_2)
	v_lshlrev_b32_e32 v7, 10, v5
	v_lshlrev_b32_e32 v8, 2, v24
	v_or_b32_e32 v6, 0xffffffe0, v24
	s_delay_alu instid0(VALU_DEP_2)
	v_or3_b32 v7, v7, v8, 0x2000
	v_mov_b32_e32 v8, -1
.LBB43_8:                               ; =>This Inner Loop Header: Depth=1
	s_delay_alu instid0(VALU_DEP_3)
	v_add_nc_u32_e32 v6, 32, v6
	ds_store_b32 v7, v8
	v_add_nc_u32_e32 v7, 0x80, v7
	v_cmp_lt_u32_e32 vcc_lo, 0xdf, v6
	s_wait_alu 0xfffe
	s_or_b32 s2, vcc_lo, s2
	s_wait_alu 0xfffe
	s_and_not1_b32 exec_lo, exec_lo, s2
	s_cbranch_execnz .LBB43_8
; %bb.9:
	s_or_b32 exec_lo, exec_lo, s2
	s_load_b32 s2, s[0:1], 0x0
	s_lshl_b32 s3, ttmp9, 3
	s_wait_storecnt 0x0
	s_wait_loadcnt_dscnt 0x0
	global_inv scope:SCOPE_SE
	s_wait_alu 0xfffe
	v_and_or_b32 v5, 0x7fffff8, s3, v5
	s_wait_kmcnt 0x0
	s_delay_alu instid0(VALU_DEP_1)
	v_cmp_gt_i32_e32 vcc_lo, s2, v5
	s_and_saveexec_b32 s2, vcc_lo
	s_cbranch_execz .LBB43_87
; %bb.10:
	s_load_b512 s[4:19], s[0:1], 0x8
	v_lshlrev_b32_e32 v5, 2, v5
	v_lshlrev_b32_e32 v0, 5, v0
	s_mov_b32 s2, exec_lo
	s_delay_alu instid0(VALU_DEP_1) | instskip(NEXT) | instid1(VALU_DEP_1)
	v_and_b32_e32 v0, 0x1c00, v0
	v_or_b32_e32 v26, 0x2000, v0
	s_wait_kmcnt 0x0
	global_load_b32 v17, v5, s[14:15]
	s_wait_loadcnt 0x0
	v_ashrrev_i32_e32 v18, 31, v17
	s_delay_alu instid0(VALU_DEP_1) | instskip(NEXT) | instid1(VALU_DEP_1)
	v_lshlrev_b64_e32 v[13:14], 2, v[17:18]
	v_add_co_u32 v5, vcc_lo, s4, v13
	s_delay_alu instid0(VALU_DEP_1)
	v_add_co_ci_u32_e64 v6, null, s5, v14, vcc_lo
	v_add_co_u32 v7, vcc_lo, s10, v13
	s_wait_alu 0xfffd
	v_add_co_ci_u32_e64 v8, null, s11, v14, vcc_lo
	global_load_b64 v[5:6], v[5:6], off
	global_load_b32 v18, v[7:8], off
	s_wait_loadcnt 0x1
	v_subrev_nc_u32_e32 v19, s28, v5
	v_subrev_nc_u32_e32 v7, s28, v6
	s_delay_alu instid0(VALU_DEP_2) | instskip(NEXT) | instid1(VALU_DEP_1)
	v_add_nc_u32_e32 v5, v19, v24
	v_cmpx_lt_i32_e64 v5, v7
	s_cbranch_execz .LBB43_33
; %bb.11:
	v_mov_b32_e32 v8, -1
	s_mov_b32 s3, 0
	s_branch .LBB43_13
.LBB43_12:                              ;   in Loop: Header=BB43_13 Depth=1
	s_or_b32 exec_lo, exec_lo, s14
	v_add_nc_u32_e32 v5, 32, v5
	s_delay_alu instid0(VALU_DEP_1)
	v_cmp_ge_i32_e32 vcc_lo, v5, v7
	s_or_b32 s3, vcc_lo, s3
	s_wait_alu 0xfffe
	s_and_not1_b32 exec_lo, exec_lo, s3
	s_cbranch_execz .LBB43_33
.LBB43_13:                              ; =>This Loop Header: Depth=1
                                        ;     Child Loop BB43_22 Depth 2
	v_ashrrev_i32_e32 v6, 31, v5
	s_mov_b32 s14, 0
                                        ; implicit-def: $sgpr15
                                        ; implicit-def: $sgpr22
                                        ; implicit-def: $sgpr23
	s_delay_alu instid0(VALU_DEP_1) | instskip(NEXT) | instid1(VALU_DEP_1)
	v_lshlrev_b64_e32 v[9:10], 2, v[5:6]
	v_add_co_u32 v9, vcc_lo, s6, v9
	s_wait_alu 0xfffd
	s_delay_alu instid0(VALU_DEP_2)
	v_add_co_ci_u32_e64 v10, null, s7, v10, vcc_lo
	global_load_b32 v6, v[9:10], off
	v_mov_b32_e32 v9, 0x100
	s_wait_loadcnt 0x0
	v_mul_lo_u32 v11, 0x67, v6
	s_branch .LBB43_22
.LBB43_14:                              ;   in Loop: Header=BB43_22 Depth=2
	s_or_b32 exec_lo, exec_lo, s36
	s_delay_alu instid0(SALU_CYCLE_1)
	s_or_not1_b32 s34, s34, exec_lo
	s_or_not1_b32 s35, s35, exec_lo
.LBB43_15:                              ;   in Loop: Header=BB43_22 Depth=2
	s_or_b32 exec_lo, exec_lo, s33
	s_delay_alu instid0(SALU_CYCLE_1)
	s_and_b32 s34, s34, exec_lo
	s_or_not1_b32 s33, s35, exec_lo
.LBB43_16:                              ;   in Loop: Header=BB43_22 Depth=2
	s_or_b32 exec_lo, exec_lo, s31
	s_delay_alu instid0(SALU_CYCLE_1)
	s_or_not1_b32 s31, s34, exec_lo
	s_or_not1_b32 s33, s33, exec_lo
.LBB43_17:                              ;   in Loop: Header=BB43_22 Depth=2
	s_or_b32 exec_lo, exec_lo, s30
	s_delay_alu instid0(SALU_CYCLE_1)
	s_and_b32 s31, s31, exec_lo
	s_or_not1_b32 s30, s33, exec_lo
.LBB43_18:                              ;   in Loop: Header=BB43_22 Depth=2
	s_wait_alu 0xfffe
	s_or_b32 exec_lo, exec_lo, s27
	s_delay_alu instid0(SALU_CYCLE_1)
	s_or_not1_b32 s27, s31, exec_lo
	s_or_not1_b32 s30, s30, exec_lo
.LBB43_19:                              ;   in Loop: Header=BB43_22 Depth=2
	s_wait_alu 0xfffe
	s_or_b32 exec_lo, exec_lo, s26
	s_delay_alu instid0(SALU_CYCLE_1)
	s_and_b32 s27, s27, exec_lo
	s_or_not1_b32 s26, s30, exec_lo
.LBB43_20:                              ;   in Loop: Header=BB43_22 Depth=2
	s_wait_alu 0xfffe
	s_or_b32 exec_lo, exec_lo, s25
	s_delay_alu instid0(SALU_CYCLE_1)
	s_and_not1_b32 s23, s23, exec_lo
	s_and_b32 s25, s27, exec_lo
	s_and_not1_b32 s22, s22, exec_lo
	s_and_b32 s26, s26, exec_lo
	s_wait_alu 0xfffe
	s_or_b32 s23, s23, s25
	s_or_b32 s22, s22, s26
.LBB43_21:                              ;   in Loop: Header=BB43_22 Depth=2
	s_wait_alu 0xfffe
	s_or_b32 exec_lo, exec_lo, s24
	s_delay_alu instid0(SALU_CYCLE_1)
	s_and_b32 s24, exec_lo, s22
	s_wait_alu 0xfffe
	s_or_b32 s14, s24, s14
	s_and_not1_b32 s15, s15, exec_lo
	s_and_b32 s24, s23, exec_lo
	s_wait_alu 0xfffe
	s_or_b32 s15, s15, s24
	s_and_not1_b32 exec_lo, exec_lo, s14
	s_cbranch_execz .LBB43_31
.LBB43_22:                              ;   Parent Loop BB43_13 Depth=1
                                        ; =>  This Inner Loop Header: Depth=2
	s_delay_alu instid0(VALU_DEP_1) | instskip(SKIP_3) | instid1(VALU_DEP_1)
	v_and_b32_e32 v10, 0xff, v11
	s_or_b32 s23, s23, exec_lo
	s_or_b32 s22, s22, exec_lo
	s_mov_b32 s24, exec_lo
	v_lshl_add_u32 v12, v10, 2, v26
	ds_load_b32 v20, v12
	s_wait_dscnt 0x0
	v_cmpx_ne_u32_e64 v20, v6
	s_cbranch_execz .LBB43_21
; %bb.23:                               ;   in Loop: Header=BB43_22 Depth=2
	ds_cmpstore_rtn_b32 v12, v12, v6, v8
	s_mov_b32 s26, -1
	s_mov_b32 s27, 0
	s_mov_b32 s25, exec_lo
	s_wait_dscnt 0x0
	v_cmpx_ne_u32_e32 -1, v12
	s_cbranch_execz .LBB43_20
; %bb.24:                               ;   in Loop: Header=BB43_22 Depth=2
	v_add_nc_u32_e32 v10, 1, v11
	s_mov_b32 s30, -1
	s_mov_b32 s27, -1
	s_mov_b32 s26, exec_lo
	s_delay_alu instid0(VALU_DEP_1) | instskip(NEXT) | instid1(VALU_DEP_1)
	v_and_b32_e32 v10, 0xff, v10
	v_lshl_add_u32 v12, v10, 2, v26
	ds_load_b32 v20, v12
	s_wait_dscnt 0x0
	v_cmpx_ne_u32_e64 v20, v6
	s_cbranch_execz .LBB43_19
; %bb.25:                               ;   in Loop: Header=BB43_22 Depth=2
	ds_cmpstore_rtn_b32 v12, v12, v6, v8
	s_mov_b32 s31, 0
	s_mov_b32 s27, exec_lo
	s_wait_dscnt 0x0
	v_cmpx_ne_u32_e32 -1, v12
	s_cbranch_execz .LBB43_18
; %bb.26:                               ;   in Loop: Header=BB43_22 Depth=2
	v_add_nc_u32_e32 v10, 2, v11
	s_mov_b32 s33, -1
	s_mov_b32 s31, -1
	s_mov_b32 s30, exec_lo
	s_delay_alu instid0(VALU_DEP_1) | instskip(NEXT) | instid1(VALU_DEP_1)
	v_and_b32_e32 v10, 0xff, v10
	v_lshl_add_u32 v12, v10, 2, v26
	ds_load_b32 v20, v12
	s_wait_dscnt 0x0
	v_cmpx_ne_u32_e64 v20, v6
	s_cbranch_execz .LBB43_17
; %bb.27:                               ;   in Loop: Header=BB43_22 Depth=2
	ds_cmpstore_rtn_b32 v12, v12, v6, v8
	s_mov_b32 s34, 0
	s_mov_b32 s31, exec_lo
	s_wait_dscnt 0x0
	v_cmpx_ne_u32_e32 -1, v12
	s_cbranch_execz .LBB43_16
; %bb.28:                               ;   in Loop: Header=BB43_22 Depth=2
	v_add_nc_u32_e32 v10, 3, v11
	s_mov_b32 s35, -1
	s_mov_b32 s34, -1
	s_delay_alu instid0(VALU_DEP_1) | instskip(NEXT) | instid1(VALU_DEP_1)
	v_and_b32_e32 v10, 0xff, v10
	v_lshl_add_u32 v12, v10, 2, v26
	ds_load_b32 v11, v12
	s_wait_dscnt 0x0
	v_cmp_ne_u32_e32 vcc_lo, v11, v6
                                        ; implicit-def: $vgpr11
	s_and_saveexec_b32 s33, vcc_lo
	s_cbranch_execz .LBB43_15
; %bb.29:                               ;   in Loop: Header=BB43_22 Depth=2
	ds_cmpstore_rtn_b32 v11, v12, v6, v8
	s_mov_b32 s34, 0
	s_wait_dscnt 0x0
	v_cmp_ne_u32_e32 vcc_lo, -1, v11
                                        ; implicit-def: $vgpr11
	s_and_saveexec_b32 s36, vcc_lo
	s_cbranch_execz .LBB43_14
; %bb.30:                               ;   in Loop: Header=BB43_22 Depth=2
	v_add_nc_u32_e32 v9, -4, v9
	v_add_nc_u32_e32 v11, 1, v10
	s_mov_b32 s34, exec_lo
	s_delay_alu instid0(VALU_DEP_2)
	v_cmp_eq_u32_e32 vcc_lo, 0, v9
	s_or_not1_b32 s35, vcc_lo, exec_lo
	s_branch .LBB43_14
.LBB43_31:                              ;   in Loop: Header=BB43_13 Depth=1
	s_or_b32 exec_lo, exec_lo, s14
	s_xor_b32 s14, s15, -1
	s_delay_alu instid0(SALU_CYCLE_1) | instskip(NEXT) | instid1(SALU_CYCLE_1)
	s_and_saveexec_b32 s15, s14
	s_xor_b32 s14, exec_lo, s15
	s_cbranch_execz .LBB43_12
; %bb.32:                               ;   in Loop: Header=BB43_13 Depth=1
	v_lshl_add_u32 v6, v10, 2, v0
	ds_store_b32 v6, v5
	s_branch .LBB43_12
.LBB43_33:
	s_wait_alu 0xfffe
	s_or_b32 exec_lo, exec_lo, s2
	s_delay_alu instid0(SALU_CYCLE_1)
	s_mov_b32 s3, exec_lo
	s_wait_loadcnt_dscnt 0x0
	global_inv scope:SCOPE_SE
	v_cmpx_lt_i32_e64 v19, v18
	s_cbranch_execz .LBB43_63
; %bb.34:
	v_add_nc_u32_e32 v27, 1, v24
	s_mov_b32 s14, 0
	s_branch .LBB43_37
.LBB43_35:                              ;   in Loop: Header=BB43_37 Depth=1
	s_or_b32 exec_lo, exec_lo, s15
	v_add_nc_u32_e32 v19, 1, v19
	s_delay_alu instid0(VALU_DEP_1)
	v_cmp_ge_i32_e32 vcc_lo, v19, v18
	s_or_not1_b32 s15, vcc_lo, exec_lo
.LBB43_36:                              ;   in Loop: Header=BB43_37 Depth=1
	s_wait_alu 0xfffe
	s_or_b32 exec_lo, exec_lo, s2
	s_delay_alu instid0(SALU_CYCLE_1) | instskip(SKIP_2) | instid1(SALU_CYCLE_1)
	s_and_b32 s2, exec_lo, s15
	s_wait_alu 0xfffe
	s_or_b32 s14, s2, s14
	s_and_not1_b32 exec_lo, exec_lo, s14
	s_cbranch_execz .LBB43_63
.LBB43_37:                              ; =>This Loop Header: Depth=1
                                        ;     Child Loop BB43_38 Depth 2
                                        ;     Child Loop BB43_43 Depth 2
                                        ;       Child Loop BB43_52 Depth 3
	v_ashrrev_i32_e32 v20, 31, v19
	s_mov_b32 s2, 0
	s_delay_alu instid0(VALU_DEP_1) | instskip(SKIP_1) | instid1(VALU_DEP_2)
	v_lshlrev_b64_e32 v[5:6], 2, v[19:20]
	v_lshlrev_b64_e32 v[7:8], 4, v[19:20]
	v_add_co_u32 v5, vcc_lo, s6, v5
	s_wait_alu 0xfffd
	s_delay_alu instid0(VALU_DEP_3) | instskip(NEXT) | instid1(VALU_DEP_3)
	v_add_co_ci_u32_e64 v6, null, s7, v6, vcc_lo
	v_add_co_u32 v20, vcc_lo, s8, v7
	s_wait_alu 0xfffd
	v_add_co_ci_u32_e64 v21, null, s9, v8, vcc_lo
	global_load_b32 v5, v[5:6], off
	s_wait_loadcnt 0x0
	v_subrev_nc_u32_e32 v5, s28, v5
	s_delay_alu instid0(VALU_DEP_1) | instskip(NEXT) | instid1(VALU_DEP_1)
	v_ashrrev_i32_e32 v6, 31, v5
	v_lshlrev_b64_e32 v[9:10], 2, v[5:6]
	s_delay_alu instid0(VALU_DEP_1) | instskip(SKIP_1) | instid1(VALU_DEP_2)
	v_add_co_u32 v11, vcc_lo, s4, v9
	s_wait_alu 0xfffd
	v_add_co_ci_u32_e64 v12, null, s5, v10, vcc_lo
	v_add_co_u32 v22, vcc_lo, s10, v9
	s_wait_alu 0xfffd
	v_add_co_ci_u32_e64 v23, null, s11, v10, vcc_lo
	global_load_b128 v[5:8], v[20:21], off
	global_load_b32 v11, v[11:12], off offset:4
	global_load_b32 v12, v[22:23], off
	v_add_co_u32 v9, vcc_lo, s12, v9
	s_wait_alu 0xfffd
	v_add_co_ci_u32_e64 v10, null, s13, v10, vcc_lo
.LBB43_38:                              ;   Parent Loop BB43_37 Depth=1
                                        ; =>  This Inner Loop Header: Depth=2
	global_load_b32 v22, v[9:10], off scope:SCOPE_DEV
	s_wait_loadcnt 0x0
	v_cmp_ne_u32_e32 vcc_lo, 0, v22
	s_wait_alu 0xfffe
	s_or_b32 s2, vcc_lo, s2
	s_wait_alu 0xfffe
	s_and_not1_b32 exec_lo, exec_lo, s2
	s_cbranch_execnz .LBB43_38
; %bb.39:                               ;   in Loop: Header=BB43_37 Depth=1
	s_or_b32 exec_lo, exec_lo, s2
	v_subrev_nc_u32_e32 v28, s28, v11
	v_cmp_eq_u32_e32 vcc_lo, -1, v12
	global_inv scope:SCOPE_DEV
	s_mov_b32 s15, -1
	v_add_nc_u32_e32 v9, -1, v28
	s_wait_alu 0xfffd
	s_delay_alu instid0(VALU_DEP_1) | instskip(NEXT) | instid1(VALU_DEP_1)
	v_cndmask_b32_e32 v22, v12, v9, vcc_lo
	v_ashrrev_i32_e32 v23, 31, v22
	s_delay_alu instid0(VALU_DEP_1) | instskip(NEXT) | instid1(VALU_DEP_1)
	v_lshlrev_b64_e32 v[9:10], 4, v[22:23]
	v_add_co_u32 v9, vcc_lo, s8, v9
	s_wait_alu 0xfffd
	s_delay_alu instid0(VALU_DEP_2)
	v_add_co_ci_u32_e64 v10, null, s9, v10, vcc_lo
	global_load_b128 v[9:12], v[9:10], off
	s_wait_loadcnt 0x0
	v_cmp_neq_f64_e32 vcc_lo, 0, v[9:10]
	v_cmp_neq_f64_e64 s2, 0, v[11:12]
	s_or_b32 s22, vcc_lo, s2
	s_delay_alu instid0(SALU_CYCLE_1)
	s_and_saveexec_b32 s2, s22
	s_cbranch_execz .LBB43_36
; %bb.40:                               ;   in Loop: Header=BB43_37 Depth=1
	v_mul_f64_e32 v[29:30], v[11:12], v[11:12]
	s_mov_b32 s15, exec_lo
	s_delay_alu instid0(VALU_DEP_1) | instskip(NEXT) | instid1(VALU_DEP_1)
	v_fma_f64 v[29:30], v[9:10], v[9:10], v[29:30]
	v_div_scale_f64 v[31:32], null, v[29:30], v[29:30], 1.0
	v_div_scale_f64 v[37:38], vcc_lo, 1.0, v[29:30], 1.0
	s_delay_alu instid0(VALU_DEP_2) | instskip(NEXT) | instid1(TRANS32_DEP_1)
	v_rcp_f64_e32 v[33:34], v[31:32]
	v_fma_f64 v[35:36], -v[31:32], v[33:34], 1.0
	s_delay_alu instid0(VALU_DEP_1) | instskip(NEXT) | instid1(VALU_DEP_1)
	v_fma_f64 v[33:34], v[33:34], v[35:36], v[33:34]
	v_fma_f64 v[35:36], -v[31:32], v[33:34], 1.0
	s_delay_alu instid0(VALU_DEP_1) | instskip(NEXT) | instid1(VALU_DEP_1)
	v_fma_f64 v[33:34], v[33:34], v[35:36], v[33:34]
	v_mul_f64_e32 v[35:36], v[37:38], v[33:34]
	s_delay_alu instid0(VALU_DEP_1) | instskip(SKIP_3) | instid1(VALU_DEP_3)
	v_fma_f64 v[31:32], -v[31:32], v[35:36], v[37:38]
	v_mul_f64_e32 v[37:38], v[7:8], v[11:12]
	v_mul_f64_e64 v[11:12], v[11:12], -v[5:6]
	s_wait_alu 0xfffd
	v_div_fmas_f64 v[31:32], v[31:32], v[33:34], v[35:36]
	s_delay_alu instid0(VALU_DEP_3) | instskip(NEXT) | instid1(VALU_DEP_3)
	v_fma_f64 v[5:6], v[5:6], v[9:10], v[37:38]
	v_fma_f64 v[7:8], v[7:8], v[9:10], v[11:12]
	v_add_nc_u32_e32 v9, v27, v22
	s_delay_alu instid0(VALU_DEP_4) | instskip(NEXT) | instid1(VALU_DEP_1)
	v_div_fixup_f64 v[29:30], v[31:32], v[29:30], 1.0
	v_mul_f64_e32 v[5:6], v[5:6], v[29:30]
	s_delay_alu instid0(VALU_DEP_4)
	v_mul_f64_e32 v[7:8], v[7:8], v[29:30]
	global_store_b128 v[20:21], v[5:8], off
	v_cmpx_lt_i32_e64 v9, v28
	s_cbranch_execz .LBB43_35
; %bb.41:                               ;   in Loop: Header=BB43_37 Depth=1
	s_mov_b32 s22, 0
	s_branch .LBB43_43
.LBB43_42:                              ;   in Loop: Header=BB43_43 Depth=2
	s_or_b32 exec_lo, exec_lo, s23
	v_add_nc_u32_e32 v9, 32, v9
	s_delay_alu instid0(VALU_DEP_1) | instskip(SKIP_1) | instid1(SALU_CYCLE_1)
	v_cmp_ge_i32_e32 vcc_lo, v9, v28
	s_or_b32 s22, vcc_lo, s22
	s_and_not1_b32 exec_lo, exec_lo, s22
	s_cbranch_execz .LBB43_35
.LBB43_43:                              ;   Parent Loop BB43_37 Depth=1
                                        ; =>  This Loop Header: Depth=2
                                        ;       Child Loop BB43_52 Depth 3
	v_ashrrev_i32_e32 v10, 31, v9
	s_mov_b32 s23, 0
                                        ; implicit-def: $sgpr24
                                        ; implicit-def: $sgpr25
                                        ; implicit-def: $sgpr26
	s_delay_alu instid0(VALU_DEP_1) | instskip(NEXT) | instid1(VALU_DEP_1)
	v_lshlrev_b64_e32 v[11:12], 2, v[9:10]
	v_add_co_u32 v11, vcc_lo, s6, v11
	s_wait_alu 0xfffd
	s_delay_alu instid0(VALU_DEP_2)
	v_add_co_ci_u32_e64 v12, null, s7, v12, vcc_lo
	global_load_b32 v11, v[11:12], off
	v_mov_b32_e32 v12, 0x100
	s_wait_loadcnt 0x0
	v_mul_lo_u32 v21, 0x67, v11
	s_branch .LBB43_52
.LBB43_44:                              ;   in Loop: Header=BB43_52 Depth=3
	s_or_b32 exec_lo, exec_lo, s39
	s_delay_alu instid0(SALU_CYCLE_1)
	s_or_not1_b32 s37, s37, exec_lo
	s_or_not1_b32 s38, s38, exec_lo
.LBB43_45:                              ;   in Loop: Header=BB43_52 Depth=3
	s_or_b32 exec_lo, exec_lo, s36
	s_delay_alu instid0(SALU_CYCLE_1)
	s_and_b32 s37, s37, exec_lo
	s_or_not1_b32 s36, s38, exec_lo
.LBB43_46:                              ;   in Loop: Header=BB43_52 Depth=3
	s_or_b32 exec_lo, exec_lo, s35
	s_delay_alu instid0(SALU_CYCLE_1)
	s_or_not1_b32 s35, s37, exec_lo
	s_or_not1_b32 s36, s36, exec_lo
.LBB43_47:                              ;   in Loop: Header=BB43_52 Depth=3
	s_or_b32 exec_lo, exec_lo, s34
	s_delay_alu instid0(SALU_CYCLE_1)
	s_and_b32 s35, s35, exec_lo
	s_or_not1_b32 s34, s36, exec_lo
.LBB43_48:                              ;   in Loop: Header=BB43_52 Depth=3
	s_or_b32 exec_lo, exec_lo, s33
	s_delay_alu instid0(SALU_CYCLE_1)
	s_or_not1_b32 s33, s35, exec_lo
	s_or_not1_b32 s34, s34, exec_lo
.LBB43_49:                              ;   in Loop: Header=BB43_52 Depth=3
	s_or_b32 exec_lo, exec_lo, s31
	s_delay_alu instid0(SALU_CYCLE_1)
	s_and_b32 s33, s33, exec_lo
	s_or_not1_b32 s31, s34, exec_lo
.LBB43_50:                              ;   in Loop: Header=BB43_52 Depth=3
	s_or_b32 exec_lo, exec_lo, s30
	s_wait_alu 0xfffe
	s_and_not1_b32 s26, s26, exec_lo
	s_and_b32 s30, s33, exec_lo
	s_and_not1_b32 s25, s25, exec_lo
	s_and_b32 s31, s31, exec_lo
	s_wait_alu 0xfffe
	s_or_b32 s26, s26, s30
	s_or_b32 s25, s25, s31
.LBB43_51:                              ;   in Loop: Header=BB43_52 Depth=3
	s_wait_alu 0xfffe
	s_or_b32 exec_lo, exec_lo, s27
	s_delay_alu instid0(SALU_CYCLE_1)
	s_and_b32 s27, exec_lo, s25
	s_wait_alu 0xfffe
	s_or_b32 s23, s27, s23
	s_and_not1_b32 s24, s24, exec_lo
	s_and_b32 s27, s26, exec_lo
	s_wait_alu 0xfffe
	s_or_b32 s24, s24, s27
	s_and_not1_b32 exec_lo, exec_lo, s23
	s_cbranch_execz .LBB43_61
.LBB43_52:                              ;   Parent Loop BB43_37 Depth=1
                                        ;     Parent Loop BB43_43 Depth=2
                                        ; =>    This Inner Loop Header: Depth=3
	s_delay_alu instid0(VALU_DEP_1) | instskip(SKIP_3) | instid1(VALU_DEP_1)
	v_and_b32_e32 v20, 0xff, v21
	s_or_b32 s26, s26, exec_lo
	s_or_b32 s25, s25, exec_lo
	s_mov_b32 s27, exec_lo
	v_lshl_add_u32 v22, v20, 2, v26
	ds_load_b32 v22, v22
	s_wait_dscnt 0x0
	v_cmpx_ne_u32_e32 -1, v22
	s_cbranch_execz .LBB43_51
; %bb.53:                               ;   in Loop: Header=BB43_52 Depth=3
	s_mov_b32 s31, -1
	s_mov_b32 s33, 0
	s_mov_b32 s30, exec_lo
	v_cmpx_ne_u32_e64 v22, v11
	s_cbranch_execz .LBB43_50
; %bb.54:                               ;   in Loop: Header=BB43_52 Depth=3
	v_add_nc_u32_e32 v20, 1, v21
	s_mov_b32 s34, -1
	s_mov_b32 s33, -1
	s_mov_b32 s31, exec_lo
	s_delay_alu instid0(VALU_DEP_1) | instskip(NEXT) | instid1(VALU_DEP_1)
	v_and_b32_e32 v20, 0xff, v20
	v_lshl_add_u32 v22, v20, 2, v26
	ds_load_b32 v22, v22
	s_wait_dscnt 0x0
	v_cmpx_ne_u32_e32 -1, v22
	s_cbranch_execz .LBB43_49
; %bb.55:                               ;   in Loop: Header=BB43_52 Depth=3
	s_mov_b32 s35, 0
	s_mov_b32 s33, exec_lo
	v_cmpx_ne_u32_e64 v22, v11
	s_cbranch_execz .LBB43_48
; %bb.56:                               ;   in Loop: Header=BB43_52 Depth=3
	v_add_nc_u32_e32 v20, 2, v21
	s_mov_b32 s36, -1
	s_mov_b32 s35, -1
	s_mov_b32 s34, exec_lo
	s_delay_alu instid0(VALU_DEP_1) | instskip(NEXT) | instid1(VALU_DEP_1)
	v_and_b32_e32 v20, 0xff, v20
	v_lshl_add_u32 v22, v20, 2, v26
	ds_load_b32 v22, v22
	s_wait_dscnt 0x0
	v_cmpx_ne_u32_e32 -1, v22
	s_cbranch_execz .LBB43_47
; %bb.57:                               ;   in Loop: Header=BB43_52 Depth=3
	s_mov_b32 s37, 0
	s_mov_b32 s35, exec_lo
	v_cmpx_ne_u32_e64 v22, v11
	s_cbranch_execz .LBB43_46
; %bb.58:                               ;   in Loop: Header=BB43_52 Depth=3
	v_add_nc_u32_e32 v20, 3, v21
	s_mov_b32 s38, -1
	s_mov_b32 s37, -1
	s_mov_b32 s36, exec_lo
	s_delay_alu instid0(VALU_DEP_1) | instskip(NEXT) | instid1(VALU_DEP_1)
	v_and_b32_e32 v20, 0xff, v20
	v_lshl_add_u32 v21, v20, 2, v26
	ds_load_b32 v22, v21
                                        ; implicit-def: $vgpr21
	s_wait_dscnt 0x0
	v_cmpx_ne_u32_e32 -1, v22
	s_cbranch_execz .LBB43_45
; %bb.59:                               ;   in Loop: Header=BB43_52 Depth=3
	s_mov_b32 s37, 0
	s_mov_b32 s39, exec_lo
                                        ; implicit-def: $vgpr21
	v_cmpx_ne_u32_e64 v22, v11
	s_cbranch_execz .LBB43_44
; %bb.60:                               ;   in Loop: Header=BB43_52 Depth=3
	v_add_nc_u32_e32 v12, -4, v12
	v_add_nc_u32_e32 v21, 1, v20
	s_mov_b32 s37, exec_lo
	s_delay_alu instid0(VALU_DEP_2)
	v_cmp_eq_u32_e32 vcc_lo, 0, v12
	s_or_not1_b32 s38, vcc_lo, exec_lo
	s_branch .LBB43_44
.LBB43_61:                              ;   in Loop: Header=BB43_43 Depth=2
	s_or_b32 exec_lo, exec_lo, s23
	s_wait_alu 0xfffe
	s_xor_b32 s23, s24, -1
	s_delay_alu instid0(SALU_CYCLE_1)
	s_and_saveexec_b32 s24, s23
	s_wait_alu 0xfffe
	s_xor_b32 s23, exec_lo, s24
	s_cbranch_execz .LBB43_42
; %bb.62:                               ;   in Loop: Header=BB43_43 Depth=2
	v_lshl_add_u32 v11, v20, 2, v0
	v_lshlrev_b64_e32 v[20:21], 4, v[9:10]
	ds_load_b32 v11, v11
	v_add_co_u32 v20, vcc_lo, s8, v20
	s_wait_alu 0xfffd
	v_add_co_ci_u32_e64 v21, null, s9, v21, vcc_lo
	s_wait_dscnt 0x0
	v_ashrrev_i32_e32 v12, 31, v11
	s_delay_alu instid0(VALU_DEP_1) | instskip(NEXT) | instid1(VALU_DEP_1)
	v_lshlrev_b64_e32 v[10:11], 4, v[11:12]
	v_add_co_u32 v10, vcc_lo, s8, v10
	s_wait_alu 0xfffd
	s_delay_alu instid0(VALU_DEP_2)
	v_add_co_ci_u32_e64 v11, null, s9, v11, vcc_lo
	s_clause 0x1
	global_load_b128 v[20:23], v[20:21], off
	global_load_b128 v[29:32], v[10:11], off
	s_wait_loadcnt 0x0
	v_fma_f64 v[29:30], -v[5:6], v[20:21], v[29:30]
	v_fma_f64 v[31:32], -v[7:8], v[20:21], v[31:32]
	s_delay_alu instid0(VALU_DEP_2) | instskip(NEXT) | instid1(VALU_DEP_2)
	v_fma_f64 v[20:21], v[7:8], v[22:23], v[29:30]
	v_fma_f64 v[22:23], -v[5:6], v[22:23], v[31:32]
	global_store_b128 v[10:11], v[20:23], off
	s_branch .LBB43_42
.LBB43_63:
	s_wait_alu 0xfffe
	s_or_b32 exec_lo, exec_lo, s3
	s_delay_alu instid0(SALU_CYCLE_1)
	s_mov_b32 s3, exec_lo
	s_wait_loadcnt 0x0
	s_wait_storecnt 0x0
	global_inv scope:SCOPE_SE
	v_cmpx_lt_i32_e32 -1, v18
	s_cbranch_execz .LBB43_85
; %bb.64:
	v_mov_b32_e32 v19, 0
	s_mov_b32 s2, exec_lo
	s_delay_alu instid0(VALU_DEP_1) | instskip(NEXT) | instid1(VALU_DEP_1)
	v_lshlrev_b64_e32 v[5:6], 4, v[18:19]
	v_add_co_u32 v9, vcc_lo, s8, v5
	s_wait_alu 0xfffd
	s_delay_alu instid0(VALU_DEP_2)
	v_add_co_ci_u32_e64 v10, null, s9, v6, vcc_lo
	global_load_b128 v[5:8], v[9:10], off
	s_wait_loadcnt 0x0
	v_cmp_gt_f64_e32 vcc_lo, 0, v[5:6]
	v_xor_b32_e32 v0, 0x80000000, v6
	v_xor_b32_e32 v18, 0x80000000, v8
	v_dual_mov_b32 v11, v5 :: v_dual_mov_b32 v20, v7
	s_wait_alu 0xfffd
	s_delay_alu instid0(VALU_DEP_3) | instskip(SKIP_3) | instid1(VALU_DEP_1)
	v_cndmask_b32_e32 v12, v6, v0, vcc_lo
	v_cmp_gt_f64_e32 vcc_lo, 0, v[7:8]
	s_wait_alu 0xfffd
	v_cndmask_b32_e32 v21, v8, v18, vcc_lo
                                        ; implicit-def: $vgpr18_vgpr19
	v_cmpx_ngt_f64_e32 v[11:12], v[20:21]
	s_wait_alu 0xfffe
	s_xor_b32 s2, exec_lo, s2
	s_cbranch_execz .LBB43_68
; %bb.65:
	v_mov_b32_e32 v18, 0
	v_mov_b32_e32 v19, 0
	s_mov_b32 s4, exec_lo
	v_cmpx_neq_f64_e32 0, v[7:8]
	s_cbranch_execz .LBB43_67
; %bb.66:
	v_div_scale_f64 v[18:19], null, v[20:21], v[20:21], v[11:12]
	v_div_scale_f64 v[28:29], vcc_lo, v[11:12], v[20:21], v[11:12]
	s_delay_alu instid0(VALU_DEP_2) | instskip(NEXT) | instid1(TRANS32_DEP_1)
	v_rcp_f64_e32 v[22:23], v[18:19]
	v_fma_f64 v[26:27], -v[18:19], v[22:23], 1.0
	s_delay_alu instid0(VALU_DEP_1) | instskip(NEXT) | instid1(VALU_DEP_1)
	v_fma_f64 v[22:23], v[22:23], v[26:27], v[22:23]
	v_fma_f64 v[26:27], -v[18:19], v[22:23], 1.0
	s_delay_alu instid0(VALU_DEP_1) | instskip(NEXT) | instid1(VALU_DEP_1)
	v_fma_f64 v[22:23], v[22:23], v[26:27], v[22:23]
	v_mul_f64_e32 v[26:27], v[28:29], v[22:23]
	s_delay_alu instid0(VALU_DEP_1) | instskip(SKIP_1) | instid1(VALU_DEP_1)
	v_fma_f64 v[18:19], -v[18:19], v[26:27], v[28:29]
	s_wait_alu 0xfffd
	v_div_fmas_f64 v[18:19], v[18:19], v[22:23], v[26:27]
	s_delay_alu instid0(VALU_DEP_1) | instskip(NEXT) | instid1(VALU_DEP_1)
	v_div_fixup_f64 v[11:12], v[18:19], v[20:21], v[11:12]
	v_fma_f64 v[11:12], v[11:12], v[11:12], 1.0
	s_delay_alu instid0(VALU_DEP_1) | instskip(SKIP_2) | instid1(VALU_DEP_1)
	v_cmp_gt_f64_e32 vcc_lo, 0x10000000, v[11:12]
	s_wait_alu 0xfffd
	v_cndmask_b32_e64 v0, 0, 0x100, vcc_lo
	v_ldexp_f64 v[11:12], v[11:12], v0
	v_cndmask_b32_e64 v0, 0, 0xffffff80, vcc_lo
	s_delay_alu instid0(VALU_DEP_2) | instskip(SKIP_1) | instid1(TRANS32_DEP_1)
	v_rsq_f64_e32 v[18:19], v[11:12]
	v_cmp_class_f64_e64 vcc_lo, v[11:12], 0x260
	v_mul_f64_e32 v[22:23], v[11:12], v[18:19]
	v_mul_f64_e32 v[18:19], 0.5, v[18:19]
	s_delay_alu instid0(VALU_DEP_1) | instskip(NEXT) | instid1(VALU_DEP_1)
	v_fma_f64 v[26:27], -v[18:19], v[22:23], 0.5
	v_fma_f64 v[22:23], v[22:23], v[26:27], v[22:23]
	v_fma_f64 v[18:19], v[18:19], v[26:27], v[18:19]
	s_delay_alu instid0(VALU_DEP_2) | instskip(NEXT) | instid1(VALU_DEP_1)
	v_fma_f64 v[26:27], -v[22:23], v[22:23], v[11:12]
	v_fma_f64 v[22:23], v[26:27], v[18:19], v[22:23]
	s_delay_alu instid0(VALU_DEP_1) | instskip(NEXT) | instid1(VALU_DEP_1)
	v_fma_f64 v[26:27], -v[22:23], v[22:23], v[11:12]
	v_fma_f64 v[18:19], v[26:27], v[18:19], v[22:23]
	s_delay_alu instid0(VALU_DEP_1) | instskip(SKIP_1) | instid1(VALU_DEP_1)
	v_ldexp_f64 v[18:19], v[18:19], v0
	s_wait_alu 0xfffd
	v_dual_cndmask_b32 v12, v19, v12 :: v_dual_cndmask_b32 v11, v18, v11
	s_delay_alu instid0(VALU_DEP_1)
	v_mul_f64_e32 v[18:19], v[20:21], v[11:12]
.LBB43_67:
	s_wait_alu 0xfffe
	s_or_b32 exec_lo, exec_lo, s4
                                        ; implicit-def: $vgpr11_vgpr12
                                        ; implicit-def: $vgpr20_vgpr21
.LBB43_68:
	s_wait_alu 0xfffe
	s_and_not1_saveexec_b32 s2, s2
	s_cbranch_execz .LBB43_70
; %bb.69:
	v_div_scale_f64 v[18:19], null, v[11:12], v[11:12], v[20:21]
	v_div_scale_f64 v[28:29], vcc_lo, v[20:21], v[11:12], v[20:21]
	s_delay_alu instid0(VALU_DEP_2) | instskip(NEXT) | instid1(TRANS32_DEP_1)
	v_rcp_f64_e32 v[22:23], v[18:19]
	v_fma_f64 v[26:27], -v[18:19], v[22:23], 1.0
	s_delay_alu instid0(VALU_DEP_1) | instskip(NEXT) | instid1(VALU_DEP_1)
	v_fma_f64 v[22:23], v[22:23], v[26:27], v[22:23]
	v_fma_f64 v[26:27], -v[18:19], v[22:23], 1.0
	s_delay_alu instid0(VALU_DEP_1) | instskip(NEXT) | instid1(VALU_DEP_1)
	v_fma_f64 v[22:23], v[22:23], v[26:27], v[22:23]
	v_mul_f64_e32 v[26:27], v[28:29], v[22:23]
	s_delay_alu instid0(VALU_DEP_1) | instskip(SKIP_1) | instid1(VALU_DEP_1)
	v_fma_f64 v[18:19], -v[18:19], v[26:27], v[28:29]
	s_wait_alu 0xfffd
	v_div_fmas_f64 v[18:19], v[18:19], v[22:23], v[26:27]
	s_delay_alu instid0(VALU_DEP_1) | instskip(NEXT) | instid1(VALU_DEP_1)
	v_div_fixup_f64 v[18:19], v[18:19], v[11:12], v[20:21]
	v_fma_f64 v[18:19], v[18:19], v[18:19], 1.0
	s_delay_alu instid0(VALU_DEP_1) | instskip(SKIP_2) | instid1(VALU_DEP_1)
	v_cmp_gt_f64_e32 vcc_lo, 0x10000000, v[18:19]
	s_wait_alu 0xfffd
	v_cndmask_b32_e64 v0, 0, 0x100, vcc_lo
	v_ldexp_f64 v[18:19], v[18:19], v0
	v_cndmask_b32_e64 v0, 0, 0xffffff80, vcc_lo
	s_delay_alu instid0(VALU_DEP_2) | instskip(SKIP_1) | instid1(TRANS32_DEP_1)
	v_rsq_f64_e32 v[20:21], v[18:19]
	v_cmp_class_f64_e64 vcc_lo, v[18:19], 0x260
	v_mul_f64_e32 v[22:23], v[18:19], v[20:21]
	v_mul_f64_e32 v[20:21], 0.5, v[20:21]
	s_delay_alu instid0(VALU_DEP_1) | instskip(NEXT) | instid1(VALU_DEP_1)
	v_fma_f64 v[26:27], -v[20:21], v[22:23], 0.5
	v_fma_f64 v[22:23], v[22:23], v[26:27], v[22:23]
	v_fma_f64 v[20:21], v[20:21], v[26:27], v[20:21]
	s_delay_alu instid0(VALU_DEP_2) | instskip(NEXT) | instid1(VALU_DEP_1)
	v_fma_f64 v[26:27], -v[22:23], v[22:23], v[18:19]
	v_fma_f64 v[22:23], v[26:27], v[20:21], v[22:23]
	s_delay_alu instid0(VALU_DEP_1) | instskip(NEXT) | instid1(VALU_DEP_1)
	v_fma_f64 v[26:27], -v[22:23], v[22:23], v[18:19]
	v_fma_f64 v[20:21], v[26:27], v[20:21], v[22:23]
	s_delay_alu instid0(VALU_DEP_1) | instskip(SKIP_1) | instid1(VALU_DEP_1)
	v_ldexp_f64 v[20:21], v[20:21], v0
	s_wait_alu 0xfffd
	v_dual_cndmask_b32 v19, v21, v19 :: v_dual_cndmask_b32 v18, v20, v18
	s_delay_alu instid0(VALU_DEP_1)
	v_mul_f64_e32 v[18:19], v[11:12], v[18:19]
.LBB43_70:
	s_wait_alu 0xfffe
	s_or_b32 exec_lo, exec_lo, s2
	v_cmp_ne_u32_e32 vcc_lo, 1, v25
	v_cmp_eq_u32_e64 s2, 0, v24
	s_mov_b32 s4, -1
	s_cbranch_vccnz .LBB43_74
; %bb.71:
	v_cvt_f64_f32_e32 v[11:12], s29
	s_cmp_eq_u64 s[20:21], 8
	s_cselect_b32 vcc_lo, -1, 0
	s_wait_alu 0xfffe
	s_delay_alu instid0(VALU_DEP_1) | instskip(NEXT) | instid1(VALU_DEP_1)
	v_dual_cndmask_b32 v12, v12, v16 :: v_dual_cndmask_b32 v11, v11, v15
	v_cmp_le_f64_e32 vcc_lo, v[18:19], v[11:12]
	s_and_b32 s5, s2, vcc_lo
	s_wait_alu 0xfffe
	s_and_saveexec_b32 s4, s5
	s_cbranch_execz .LBB43_73
; %bb.72:
	global_store_b128 v[9:10], v[1:4], off
	s_wait_storecnt 0x0
	global_inv scope:SCOPE_DEV
.LBB43_73:
	s_wait_alu 0xfffe
	s_or_b32 exec_lo, exec_lo, s4
	s_mov_b32 s4, 0
.LBB43_74:
	s_wait_alu 0xfffe
	s_and_not1_b32 vcc_lo, exec_lo, s4
	s_wait_alu 0xfffe
	s_cbranch_vccnz .LBB43_85
; %bb.75:
	s_load_b64 s[0:1], s[0:1], 0x48
	v_add_nc_u32_e32 v0, s28, v17
	s_wait_kmcnt 0x0
	v_cmp_ge_f64_e32 vcc_lo, s[0:1], v[18:19]
	s_and_b32 s1, s2, vcc_lo
	s_wait_alu 0xfffe
	s_and_saveexec_b32 s0, s1
	s_cbranch_execz .LBB43_80
; %bb.76:
	s_mov_b32 s4, exec_lo
	s_brev_b32 s1, -2
.LBB43_77:                              ; =>This Inner Loop Header: Depth=1
	s_wait_alu 0xfffe
	s_ctz_i32_b32 s5, s4
	s_wait_alu 0xfffe
	v_readlane_b32 s6, v0, s5
	s_lshl_b32 s5, 1, s5
	s_wait_alu 0xfffe
	s_and_not1_b32 s4, s4, s5
	s_min_i32 s1, s1, s6
	s_wait_alu 0xfffe
	s_cmp_lg_u32 s4, 0
	s_cbranch_scc1 .LBB43_77
; %bb.78:
	v_mbcnt_lo_u32_b32 v1, exec_lo, 0
	s_mov_b32 s4, exec_lo
	s_delay_alu instid0(VALU_DEP_1)
	v_cmpx_eq_u32_e32 0, v1
	s_wait_alu 0xfffe
	s_xor_b32 s4, exec_lo, s4
	s_cbranch_execz .LBB43_80
; %bb.79:
	v_dual_mov_b32 v1, 0 :: v_dual_mov_b32 v2, s1
	global_atomic_min_i32 v1, v2, s[18:19] scope:SCOPE_DEV
.LBB43_80:
	s_wait_alu 0xfffe
	s_or_b32 exec_lo, exec_lo, s0
	v_cmp_eq_f64_e32 vcc_lo, 0, v[5:6]
	v_cmp_eq_f64_e64 s0, 0, v[7:8]
	s_and_b32 s0, vcc_lo, s0
	s_wait_alu 0xfffe
	s_and_b32 s0, s2, s0
	s_wait_alu 0xfffe
	s_and_b32 exec_lo, exec_lo, s0
	s_cbranch_execz .LBB43_85
; %bb.81:
	s_mov_b32 s1, exec_lo
	s_brev_b32 s0, -2
.LBB43_82:                              ; =>This Inner Loop Header: Depth=1
	s_wait_alu 0xfffe
	s_ctz_i32_b32 s2, s1
	s_wait_alu 0xfffe
	v_readlane_b32 s4, v0, s2
	s_lshl_b32 s2, 1, s2
	s_wait_alu 0xfffe
	s_and_not1_b32 s1, s1, s2
	s_min_i32 s0, s0, s4
	s_wait_alu 0xfffe
	s_cmp_lg_u32 s1, 0
	s_cbranch_scc1 .LBB43_82
; %bb.83:
	v_mbcnt_lo_u32_b32 v0, exec_lo, 0
	s_mov_b32 s1, exec_lo
	s_delay_alu instid0(VALU_DEP_1)
	v_cmpx_eq_u32_e32 0, v0
	s_wait_alu 0xfffe
	s_xor_b32 s1, exec_lo, s1
	s_cbranch_execz .LBB43_85
; %bb.84:
	v_dual_mov_b32 v0, 0 :: v_dual_mov_b32 v1, s0
	global_atomic_min_i32 v0, v1, s[16:17] scope:SCOPE_DEV
.LBB43_85:
	s_wait_alu 0xfffe
	s_or_b32 exec_lo, exec_lo, s3
	v_cmp_eq_u32_e32 vcc_lo, 0, v24
	s_wait_loadcnt 0x0
	s_wait_storecnt 0x0
	global_inv scope:SCOPE_DEV
	s_and_b32 exec_lo, exec_lo, vcc_lo
	s_cbranch_execz .LBB43_87
; %bb.86:
	v_add_co_u32 v0, vcc_lo, s12, v13
	s_wait_alu 0xfffd
	v_add_co_ci_u32_e64 v1, null, s13, v14, vcc_lo
	v_mov_b32_e32 v2, 1
	s_wait_loadcnt 0x0
	global_store_b32 v[0:1], v2, off scope:SCOPE_DEV
.LBB43_87:
	s_endpgm
	.section	.rodata,"a",@progbits
	.p2align	6, 0x0
	.amdhsa_kernel _ZN9rocsparseL12csrilu0_hashILj256ELj32ELj8E21rocsparse_complex_numIdEEEviPKiS4_PT2_S4_PiS4_S7_S7_d21rocsparse_index_base_imNS_24const_host_device_scalarIfEENS9_IdEENS9_IS5_EEb
		.amdhsa_group_segment_fixed_size 16384
		.amdhsa_private_segment_fixed_size 16
		.amdhsa_kernarg_size 132
		.amdhsa_user_sgpr_count 2
		.amdhsa_user_sgpr_dispatch_ptr 0
		.amdhsa_user_sgpr_queue_ptr 0
		.amdhsa_user_sgpr_kernarg_segment_ptr 1
		.amdhsa_user_sgpr_dispatch_id 0
		.amdhsa_user_sgpr_private_segment_size 0
		.amdhsa_wavefront_size32 1
		.amdhsa_uses_dynamic_stack 0
		.amdhsa_enable_private_segment 1
		.amdhsa_system_sgpr_workgroup_id_x 1
		.amdhsa_system_sgpr_workgroup_id_y 0
		.amdhsa_system_sgpr_workgroup_id_z 0
		.amdhsa_system_sgpr_workgroup_info 0
		.amdhsa_system_vgpr_workitem_id 0
		.amdhsa_next_free_vgpr 39
		.amdhsa_next_free_sgpr 40
		.amdhsa_reserve_vcc 1
		.amdhsa_float_round_mode_32 0
		.amdhsa_float_round_mode_16_64 0
		.amdhsa_float_denorm_mode_32 3
		.amdhsa_float_denorm_mode_16_64 3
		.amdhsa_fp16_overflow 0
		.amdhsa_workgroup_processor_mode 1
		.amdhsa_memory_ordered 1
		.amdhsa_forward_progress 1
		.amdhsa_inst_pref_size 33
		.amdhsa_round_robin_scheduling 0
		.amdhsa_exception_fp_ieee_invalid_op 0
		.amdhsa_exception_fp_denorm_src 0
		.amdhsa_exception_fp_ieee_div_zero 0
		.amdhsa_exception_fp_ieee_overflow 0
		.amdhsa_exception_fp_ieee_underflow 0
		.amdhsa_exception_fp_ieee_inexact 0
		.amdhsa_exception_int_div_zero 0
	.end_amdhsa_kernel
	.section	.text._ZN9rocsparseL12csrilu0_hashILj256ELj32ELj8E21rocsparse_complex_numIdEEEviPKiS4_PT2_S4_PiS4_S7_S7_d21rocsparse_index_base_imNS_24const_host_device_scalarIfEENS9_IdEENS9_IS5_EEb,"axG",@progbits,_ZN9rocsparseL12csrilu0_hashILj256ELj32ELj8E21rocsparse_complex_numIdEEEviPKiS4_PT2_S4_PiS4_S7_S7_d21rocsparse_index_base_imNS_24const_host_device_scalarIfEENS9_IdEENS9_IS5_EEb,comdat
.Lfunc_end43:
	.size	_ZN9rocsparseL12csrilu0_hashILj256ELj32ELj8E21rocsparse_complex_numIdEEEviPKiS4_PT2_S4_PiS4_S7_S7_d21rocsparse_index_base_imNS_24const_host_device_scalarIfEENS9_IdEENS9_IS5_EEb, .Lfunc_end43-_ZN9rocsparseL12csrilu0_hashILj256ELj32ELj8E21rocsparse_complex_numIdEEEviPKiS4_PT2_S4_PiS4_S7_S7_d21rocsparse_index_base_imNS_24const_host_device_scalarIfEENS9_IdEENS9_IS5_EEb
                                        ; -- End function
	.set _ZN9rocsparseL12csrilu0_hashILj256ELj32ELj8E21rocsparse_complex_numIdEEEviPKiS4_PT2_S4_PiS4_S7_S7_d21rocsparse_index_base_imNS_24const_host_device_scalarIfEENS9_IdEENS9_IS5_EEb.num_vgpr, 39
	.set _ZN9rocsparseL12csrilu0_hashILj256ELj32ELj8E21rocsparse_complex_numIdEEEviPKiS4_PT2_S4_PiS4_S7_S7_d21rocsparse_index_base_imNS_24const_host_device_scalarIfEENS9_IdEENS9_IS5_EEb.num_agpr, 0
	.set _ZN9rocsparseL12csrilu0_hashILj256ELj32ELj8E21rocsparse_complex_numIdEEEviPKiS4_PT2_S4_PiS4_S7_S7_d21rocsparse_index_base_imNS_24const_host_device_scalarIfEENS9_IdEENS9_IS5_EEb.numbered_sgpr, 40
	.set _ZN9rocsparseL12csrilu0_hashILj256ELj32ELj8E21rocsparse_complex_numIdEEEviPKiS4_PT2_S4_PiS4_S7_S7_d21rocsparse_index_base_imNS_24const_host_device_scalarIfEENS9_IdEENS9_IS5_EEb.num_named_barrier, 0
	.set _ZN9rocsparseL12csrilu0_hashILj256ELj32ELj8E21rocsparse_complex_numIdEEEviPKiS4_PT2_S4_PiS4_S7_S7_d21rocsparse_index_base_imNS_24const_host_device_scalarIfEENS9_IdEENS9_IS5_EEb.private_seg_size, 16
	.set _ZN9rocsparseL12csrilu0_hashILj256ELj32ELj8E21rocsparse_complex_numIdEEEviPKiS4_PT2_S4_PiS4_S7_S7_d21rocsparse_index_base_imNS_24const_host_device_scalarIfEENS9_IdEENS9_IS5_EEb.uses_vcc, 1
	.set _ZN9rocsparseL12csrilu0_hashILj256ELj32ELj8E21rocsparse_complex_numIdEEEviPKiS4_PT2_S4_PiS4_S7_S7_d21rocsparse_index_base_imNS_24const_host_device_scalarIfEENS9_IdEENS9_IS5_EEb.uses_flat_scratch, 0
	.set _ZN9rocsparseL12csrilu0_hashILj256ELj32ELj8E21rocsparse_complex_numIdEEEviPKiS4_PT2_S4_PiS4_S7_S7_d21rocsparse_index_base_imNS_24const_host_device_scalarIfEENS9_IdEENS9_IS5_EEb.has_dyn_sized_stack, 0
	.set _ZN9rocsparseL12csrilu0_hashILj256ELj32ELj8E21rocsparse_complex_numIdEEEviPKiS4_PT2_S4_PiS4_S7_S7_d21rocsparse_index_base_imNS_24const_host_device_scalarIfEENS9_IdEENS9_IS5_EEb.has_recursion, 0
	.set _ZN9rocsparseL12csrilu0_hashILj256ELj32ELj8E21rocsparse_complex_numIdEEEviPKiS4_PT2_S4_PiS4_S7_S7_d21rocsparse_index_base_imNS_24const_host_device_scalarIfEENS9_IdEENS9_IS5_EEb.has_indirect_call, 0
	.section	.AMDGPU.csdata,"",@progbits
; Kernel info:
; codeLenInByte = 4140
; TotalNumSgprs: 42
; NumVgprs: 39
; ScratchSize: 16
; MemoryBound: 0
; FloatMode: 240
; IeeeMode: 1
; LDSByteSize: 16384 bytes/workgroup (compile time only)
; SGPRBlocks: 0
; VGPRBlocks: 4
; NumSGPRsForWavesPerEU: 42
; NumVGPRsForWavesPerEU: 39
; Occupancy: 16
; WaveLimiterHint : 1
; COMPUTE_PGM_RSRC2:SCRATCH_EN: 1
; COMPUTE_PGM_RSRC2:USER_SGPR: 2
; COMPUTE_PGM_RSRC2:TRAP_HANDLER: 0
; COMPUTE_PGM_RSRC2:TGID_X_EN: 1
; COMPUTE_PGM_RSRC2:TGID_Y_EN: 0
; COMPUTE_PGM_RSRC2:TGID_Z_EN: 0
; COMPUTE_PGM_RSRC2:TIDIG_COMP_CNT: 0
	.section	.text._ZN9rocsparseL12csrilu0_hashILj256ELj32ELj16E21rocsparse_complex_numIdEEEviPKiS4_PT2_S4_PiS4_S7_S7_d21rocsparse_index_base_imNS_24const_host_device_scalarIfEENS9_IdEENS9_IS5_EEb,"axG",@progbits,_ZN9rocsparseL12csrilu0_hashILj256ELj32ELj16E21rocsparse_complex_numIdEEEviPKiS4_PT2_S4_PiS4_S7_S7_d21rocsparse_index_base_imNS_24const_host_device_scalarIfEENS9_IdEENS9_IS5_EEb,comdat
	.globl	_ZN9rocsparseL12csrilu0_hashILj256ELj32ELj16E21rocsparse_complex_numIdEEEviPKiS4_PT2_S4_PiS4_S7_S7_d21rocsparse_index_base_imNS_24const_host_device_scalarIfEENS9_IdEENS9_IS5_EEb ; -- Begin function _ZN9rocsparseL12csrilu0_hashILj256ELj32ELj16E21rocsparse_complex_numIdEEEviPKiS4_PT2_S4_PiS4_S7_S7_d21rocsparse_index_base_imNS_24const_host_device_scalarIfEENS9_IdEENS9_IS5_EEb
	.p2align	8
	.type	_ZN9rocsparseL12csrilu0_hashILj256ELj32ELj16E21rocsparse_complex_numIdEEEviPKiS4_PT2_S4_PiS4_S7_S7_d21rocsparse_index_base_imNS_24const_host_device_scalarIfEENS9_IdEENS9_IS5_EEb,@function
_ZN9rocsparseL12csrilu0_hashILj256ELj32ELj16E21rocsparse_complex_numIdEEEviPKiS4_PT2_S4_PiS4_S7_S7_d21rocsparse_index_base_imNS_24const_host_device_scalarIfEENS9_IdEENS9_IS5_EEb: ; @_ZN9rocsparseL12csrilu0_hashILj256ELj32ELj16E21rocsparse_complex_numIdEEEviPKiS4_PT2_S4_PiS4_S7_S7_d21rocsparse_index_base_imNS_24const_host_device_scalarIfEENS9_IdEENS9_IS5_EEb
; %bb.0:
	s_clause 0x2
	s_load_b96 s[4:6], s[0:1], 0x78
	s_load_b64 s[28:29], s[0:1], 0x50
	s_load_b256 s[20:27], s[0:1], 0x58
	s_wait_kmcnt 0x0
	s_bitcmp1_b32 s6, 0
	s_cselect_b32 s6, -1, 0
	s_cmp_eq_u32 s29, 0
	v_dual_mov_b32 v1, s26 :: v_dual_mov_b32 v2, s27
	s_cselect_b32 s2, -1, 0
	s_cmp_lg_u32 s29, 0
	s_cselect_b32 s7, -1, 0
	s_or_b32 s9, s2, s6
	scratch_store_b64 off, v[1:2], off
	s_xor_b32 s8, s9, -1
	s_and_b32 s2, s2, exec_lo
	s_cselect_b32 s3, 0, s25
	s_cselect_b32 s2, 0, s24
	;; [unrolled: 1-line block ×3, first 2 shown]
	s_and_b32 vcc_lo, exec_lo, s9
	s_cbranch_vccnz .LBB44_2
; %bb.1:
	s_load_b32 s29, s[22:23], 0x0
	s_mov_b64 s[2:3], s[24:25]
.LBB44_2:
	s_delay_alu instid0(SALU_CYCLE_1)
	v_dual_mov_b32 v16, s3 :: v_dual_mov_b32 v15, s2
	s_and_not1_b32 vcc_lo, exec_lo, s8
	s_cbranch_vccnz .LBB44_4
; %bb.3:
	v_dual_mov_b32 v1, s24 :: v_dual_mov_b32 v2, s25
	flat_load_b64 v[15:16], v[1:2]
.LBB44_4:
	v_mov_b32_e32 v3, 0
	v_dual_mov_b32 v4, 0 :: v_dual_mov_b32 v1, 0
	v_cndmask_b32_e64 v25, 0, 1, s7
	v_mov_b32_e32 v2, 0
	s_and_not1_b32 vcc_lo, exec_lo, s7
	s_cbranch_vccnz .LBB44_7
; %bb.5:
	s_mov_b64 s[2:3], src_private_base
	s_xor_b32 s2, s6, -1
	s_and_b32 s6, s6, exec_lo
	s_cselect_b32 s6, 0, s26
	s_wait_alu 0xfffe
	s_cselect_b32 s3, s3, s27
	s_wait_alu 0xfffe
	v_dual_mov_b32 v1, s6 :: v_dual_mov_b32 v2, s3
	v_dual_mov_b32 v3, s4 :: v_dual_mov_b32 v4, s5
	s_and_not1_b32 vcc_lo, exec_lo, s2
	flat_load_b64 v[1:2], v[1:2]
	s_cbranch_vccnz .LBB44_7
; %bb.6:
	v_dual_mov_b32 v3, s26 :: v_dual_mov_b32 v4, s27
	flat_load_b64 v[3:4], v[3:4] offset:8
.LBB44_7:
	v_lshrrev_b32_e32 v5, 5, v0
	v_and_b32_e32 v24, 31, v0
	s_mov_b32 s2, 0
	s_delay_alu instid0(VALU_DEP_2) | instskip(NEXT) | instid1(VALU_DEP_2)
	v_lshlrev_b32_e32 v7, 11, v5
	v_lshlrev_b32_e32 v8, 2, v24
	v_or_b32_e32 v6, 0xffffffe0, v24
	s_delay_alu instid0(VALU_DEP_2)
	v_or3_b32 v7, v7, v8, 0x4000
	v_mov_b32_e32 v8, -1
.LBB44_8:                               ; =>This Inner Loop Header: Depth=1
	s_delay_alu instid0(VALU_DEP_3)
	v_add_nc_u32_e32 v6, 32, v6
	ds_store_b32 v7, v8
	v_add_nc_u32_e32 v7, 0x80, v7
	v_cmp_lt_u32_e32 vcc_lo, 0x1df, v6
	s_wait_alu 0xfffe
	s_or_b32 s2, vcc_lo, s2
	s_wait_alu 0xfffe
	s_and_not1_b32 exec_lo, exec_lo, s2
	s_cbranch_execnz .LBB44_8
; %bb.9:
	s_or_b32 exec_lo, exec_lo, s2
	s_load_b32 s2, s[0:1], 0x0
	s_lshl_b32 s3, ttmp9, 3
	s_wait_storecnt 0x0
	s_wait_loadcnt_dscnt 0x0
	global_inv scope:SCOPE_SE
	s_wait_alu 0xfffe
	v_and_or_b32 v5, 0x7fffff8, s3, v5
	s_wait_kmcnt 0x0
	s_delay_alu instid0(VALU_DEP_1)
	v_cmp_gt_i32_e32 vcc_lo, s2, v5
	s_and_saveexec_b32 s2, vcc_lo
	s_cbranch_execz .LBB44_87
; %bb.10:
	s_load_b512 s[4:19], s[0:1], 0x8
	v_lshlrev_b32_e32 v5, 2, v5
	v_lshlrev_b32_e32 v0, 6, v0
	s_mov_b32 s2, exec_lo
	s_delay_alu instid0(VALU_DEP_1) | instskip(NEXT) | instid1(VALU_DEP_1)
	v_and_b32_e32 v0, 0x3800, v0
	v_or_b32_e32 v26, 0x4000, v0
	s_wait_kmcnt 0x0
	global_load_b32 v17, v5, s[14:15]
	s_wait_loadcnt 0x0
	v_ashrrev_i32_e32 v18, 31, v17
	s_delay_alu instid0(VALU_DEP_1) | instskip(NEXT) | instid1(VALU_DEP_1)
	v_lshlrev_b64_e32 v[13:14], 2, v[17:18]
	v_add_co_u32 v5, vcc_lo, s4, v13
	s_delay_alu instid0(VALU_DEP_1)
	v_add_co_ci_u32_e64 v6, null, s5, v14, vcc_lo
	v_add_co_u32 v7, vcc_lo, s10, v13
	s_wait_alu 0xfffd
	v_add_co_ci_u32_e64 v8, null, s11, v14, vcc_lo
	global_load_b64 v[5:6], v[5:6], off
	global_load_b32 v18, v[7:8], off
	s_wait_loadcnt 0x1
	v_subrev_nc_u32_e32 v19, s28, v5
	v_subrev_nc_u32_e32 v7, s28, v6
	s_delay_alu instid0(VALU_DEP_2) | instskip(NEXT) | instid1(VALU_DEP_1)
	v_add_nc_u32_e32 v5, v19, v24
	v_cmpx_lt_i32_e64 v5, v7
	s_cbranch_execz .LBB44_33
; %bb.11:
	v_mov_b32_e32 v8, -1
	s_mov_b32 s3, 0
	s_branch .LBB44_13
.LBB44_12:                              ;   in Loop: Header=BB44_13 Depth=1
	s_or_b32 exec_lo, exec_lo, s14
	v_add_nc_u32_e32 v5, 32, v5
	s_delay_alu instid0(VALU_DEP_1)
	v_cmp_ge_i32_e32 vcc_lo, v5, v7
	s_or_b32 s3, vcc_lo, s3
	s_wait_alu 0xfffe
	s_and_not1_b32 exec_lo, exec_lo, s3
	s_cbranch_execz .LBB44_33
.LBB44_13:                              ; =>This Loop Header: Depth=1
                                        ;     Child Loop BB44_22 Depth 2
	v_ashrrev_i32_e32 v6, 31, v5
	s_mov_b32 s14, 0
                                        ; implicit-def: $sgpr15
                                        ; implicit-def: $sgpr22
                                        ; implicit-def: $sgpr23
	s_delay_alu instid0(VALU_DEP_1) | instskip(NEXT) | instid1(VALU_DEP_1)
	v_lshlrev_b64_e32 v[9:10], 2, v[5:6]
	v_add_co_u32 v9, vcc_lo, s6, v9
	s_wait_alu 0xfffd
	s_delay_alu instid0(VALU_DEP_2)
	v_add_co_ci_u32_e64 v10, null, s7, v10, vcc_lo
	global_load_b32 v6, v[9:10], off
	v_mov_b32_e32 v9, 0x200
	s_wait_loadcnt 0x0
	v_mul_lo_u32 v11, 0x67, v6
	s_branch .LBB44_22
.LBB44_14:                              ;   in Loop: Header=BB44_22 Depth=2
	s_or_b32 exec_lo, exec_lo, s36
	s_delay_alu instid0(SALU_CYCLE_1)
	s_or_not1_b32 s34, s34, exec_lo
	s_or_not1_b32 s35, s35, exec_lo
.LBB44_15:                              ;   in Loop: Header=BB44_22 Depth=2
	s_or_b32 exec_lo, exec_lo, s33
	s_delay_alu instid0(SALU_CYCLE_1)
	s_and_b32 s34, s34, exec_lo
	s_or_not1_b32 s33, s35, exec_lo
.LBB44_16:                              ;   in Loop: Header=BB44_22 Depth=2
	s_or_b32 exec_lo, exec_lo, s31
	s_delay_alu instid0(SALU_CYCLE_1)
	s_or_not1_b32 s31, s34, exec_lo
	s_or_not1_b32 s33, s33, exec_lo
.LBB44_17:                              ;   in Loop: Header=BB44_22 Depth=2
	s_or_b32 exec_lo, exec_lo, s30
	s_delay_alu instid0(SALU_CYCLE_1)
	s_and_b32 s31, s31, exec_lo
	s_or_not1_b32 s30, s33, exec_lo
.LBB44_18:                              ;   in Loop: Header=BB44_22 Depth=2
	s_wait_alu 0xfffe
	s_or_b32 exec_lo, exec_lo, s27
	s_delay_alu instid0(SALU_CYCLE_1)
	s_or_not1_b32 s27, s31, exec_lo
	s_or_not1_b32 s30, s30, exec_lo
.LBB44_19:                              ;   in Loop: Header=BB44_22 Depth=2
	s_wait_alu 0xfffe
	s_or_b32 exec_lo, exec_lo, s26
	s_delay_alu instid0(SALU_CYCLE_1)
	s_and_b32 s27, s27, exec_lo
	s_or_not1_b32 s26, s30, exec_lo
.LBB44_20:                              ;   in Loop: Header=BB44_22 Depth=2
	s_wait_alu 0xfffe
	s_or_b32 exec_lo, exec_lo, s25
	s_delay_alu instid0(SALU_CYCLE_1)
	s_and_not1_b32 s23, s23, exec_lo
	s_and_b32 s25, s27, exec_lo
	s_and_not1_b32 s22, s22, exec_lo
	s_and_b32 s26, s26, exec_lo
	s_wait_alu 0xfffe
	s_or_b32 s23, s23, s25
	s_or_b32 s22, s22, s26
.LBB44_21:                              ;   in Loop: Header=BB44_22 Depth=2
	s_wait_alu 0xfffe
	s_or_b32 exec_lo, exec_lo, s24
	s_delay_alu instid0(SALU_CYCLE_1)
	s_and_b32 s24, exec_lo, s22
	s_wait_alu 0xfffe
	s_or_b32 s14, s24, s14
	s_and_not1_b32 s15, s15, exec_lo
	s_and_b32 s24, s23, exec_lo
	s_wait_alu 0xfffe
	s_or_b32 s15, s15, s24
	s_and_not1_b32 exec_lo, exec_lo, s14
	s_cbranch_execz .LBB44_31
.LBB44_22:                              ;   Parent Loop BB44_13 Depth=1
                                        ; =>  This Inner Loop Header: Depth=2
	s_delay_alu instid0(VALU_DEP_1) | instskip(SKIP_3) | instid1(VALU_DEP_1)
	v_and_b32_e32 v10, 0x1ff, v11
	s_or_b32 s23, s23, exec_lo
	s_or_b32 s22, s22, exec_lo
	s_mov_b32 s24, exec_lo
	v_lshl_add_u32 v12, v10, 2, v26
	ds_load_b32 v20, v12
	s_wait_dscnt 0x0
	v_cmpx_ne_u32_e64 v20, v6
	s_cbranch_execz .LBB44_21
; %bb.23:                               ;   in Loop: Header=BB44_22 Depth=2
	ds_cmpstore_rtn_b32 v12, v12, v6, v8
	s_mov_b32 s26, -1
	s_mov_b32 s27, 0
	s_mov_b32 s25, exec_lo
	s_wait_dscnt 0x0
	v_cmpx_ne_u32_e32 -1, v12
	s_cbranch_execz .LBB44_20
; %bb.24:                               ;   in Loop: Header=BB44_22 Depth=2
	v_add_nc_u32_e32 v10, 1, v11
	s_mov_b32 s30, -1
	s_mov_b32 s27, -1
	s_mov_b32 s26, exec_lo
	s_delay_alu instid0(VALU_DEP_1) | instskip(NEXT) | instid1(VALU_DEP_1)
	v_and_b32_e32 v10, 0x1ff, v10
	v_lshl_add_u32 v12, v10, 2, v26
	ds_load_b32 v20, v12
	s_wait_dscnt 0x0
	v_cmpx_ne_u32_e64 v20, v6
	s_cbranch_execz .LBB44_19
; %bb.25:                               ;   in Loop: Header=BB44_22 Depth=2
	ds_cmpstore_rtn_b32 v12, v12, v6, v8
	s_mov_b32 s31, 0
	s_mov_b32 s27, exec_lo
	s_wait_dscnt 0x0
	v_cmpx_ne_u32_e32 -1, v12
	s_cbranch_execz .LBB44_18
; %bb.26:                               ;   in Loop: Header=BB44_22 Depth=2
	v_add_nc_u32_e32 v10, 2, v11
	s_mov_b32 s33, -1
	s_mov_b32 s31, -1
	s_mov_b32 s30, exec_lo
	s_delay_alu instid0(VALU_DEP_1) | instskip(NEXT) | instid1(VALU_DEP_1)
	v_and_b32_e32 v10, 0x1ff, v10
	v_lshl_add_u32 v12, v10, 2, v26
	ds_load_b32 v20, v12
	s_wait_dscnt 0x0
	v_cmpx_ne_u32_e64 v20, v6
	s_cbranch_execz .LBB44_17
; %bb.27:                               ;   in Loop: Header=BB44_22 Depth=2
	ds_cmpstore_rtn_b32 v12, v12, v6, v8
	s_mov_b32 s34, 0
	s_mov_b32 s31, exec_lo
	s_wait_dscnt 0x0
	v_cmpx_ne_u32_e32 -1, v12
	s_cbranch_execz .LBB44_16
; %bb.28:                               ;   in Loop: Header=BB44_22 Depth=2
	v_add_nc_u32_e32 v10, 3, v11
	s_mov_b32 s35, -1
	s_mov_b32 s34, -1
	s_delay_alu instid0(VALU_DEP_1) | instskip(NEXT) | instid1(VALU_DEP_1)
	v_and_b32_e32 v10, 0x1ff, v10
	v_lshl_add_u32 v12, v10, 2, v26
	ds_load_b32 v11, v12
	s_wait_dscnt 0x0
	v_cmp_ne_u32_e32 vcc_lo, v11, v6
                                        ; implicit-def: $vgpr11
	s_and_saveexec_b32 s33, vcc_lo
	s_cbranch_execz .LBB44_15
; %bb.29:                               ;   in Loop: Header=BB44_22 Depth=2
	ds_cmpstore_rtn_b32 v11, v12, v6, v8
	s_mov_b32 s34, 0
	s_wait_dscnt 0x0
	v_cmp_ne_u32_e32 vcc_lo, -1, v11
                                        ; implicit-def: $vgpr11
	s_and_saveexec_b32 s36, vcc_lo
	s_cbranch_execz .LBB44_14
; %bb.30:                               ;   in Loop: Header=BB44_22 Depth=2
	v_add_nc_u32_e32 v9, -4, v9
	v_add_nc_u32_e32 v11, 1, v10
	s_mov_b32 s34, exec_lo
	s_delay_alu instid0(VALU_DEP_2)
	v_cmp_eq_u32_e32 vcc_lo, 0, v9
	s_or_not1_b32 s35, vcc_lo, exec_lo
	s_branch .LBB44_14
.LBB44_31:                              ;   in Loop: Header=BB44_13 Depth=1
	s_or_b32 exec_lo, exec_lo, s14
	s_xor_b32 s14, s15, -1
	s_delay_alu instid0(SALU_CYCLE_1) | instskip(NEXT) | instid1(SALU_CYCLE_1)
	s_and_saveexec_b32 s15, s14
	s_xor_b32 s14, exec_lo, s15
	s_cbranch_execz .LBB44_12
; %bb.32:                               ;   in Loop: Header=BB44_13 Depth=1
	v_lshl_add_u32 v6, v10, 2, v0
	ds_store_b32 v6, v5
	s_branch .LBB44_12
.LBB44_33:
	s_wait_alu 0xfffe
	s_or_b32 exec_lo, exec_lo, s2
	s_delay_alu instid0(SALU_CYCLE_1)
	s_mov_b32 s3, exec_lo
	s_wait_loadcnt_dscnt 0x0
	global_inv scope:SCOPE_SE
	v_cmpx_lt_i32_e64 v19, v18
	s_cbranch_execz .LBB44_63
; %bb.34:
	v_add_nc_u32_e32 v27, 1, v24
	s_mov_b32 s14, 0
	s_branch .LBB44_37
.LBB44_35:                              ;   in Loop: Header=BB44_37 Depth=1
	s_or_b32 exec_lo, exec_lo, s15
	v_add_nc_u32_e32 v19, 1, v19
	s_delay_alu instid0(VALU_DEP_1)
	v_cmp_ge_i32_e32 vcc_lo, v19, v18
	s_or_not1_b32 s15, vcc_lo, exec_lo
.LBB44_36:                              ;   in Loop: Header=BB44_37 Depth=1
	s_wait_alu 0xfffe
	s_or_b32 exec_lo, exec_lo, s2
	s_delay_alu instid0(SALU_CYCLE_1) | instskip(SKIP_2) | instid1(SALU_CYCLE_1)
	s_and_b32 s2, exec_lo, s15
	s_wait_alu 0xfffe
	s_or_b32 s14, s2, s14
	s_and_not1_b32 exec_lo, exec_lo, s14
	s_cbranch_execz .LBB44_63
.LBB44_37:                              ; =>This Loop Header: Depth=1
                                        ;     Child Loop BB44_38 Depth 2
                                        ;     Child Loop BB44_43 Depth 2
                                        ;       Child Loop BB44_52 Depth 3
	v_ashrrev_i32_e32 v20, 31, v19
	s_mov_b32 s2, 0
	s_delay_alu instid0(VALU_DEP_1) | instskip(SKIP_1) | instid1(VALU_DEP_2)
	v_lshlrev_b64_e32 v[5:6], 2, v[19:20]
	v_lshlrev_b64_e32 v[7:8], 4, v[19:20]
	v_add_co_u32 v5, vcc_lo, s6, v5
	s_wait_alu 0xfffd
	s_delay_alu instid0(VALU_DEP_3) | instskip(NEXT) | instid1(VALU_DEP_3)
	v_add_co_ci_u32_e64 v6, null, s7, v6, vcc_lo
	v_add_co_u32 v20, vcc_lo, s8, v7
	s_wait_alu 0xfffd
	v_add_co_ci_u32_e64 v21, null, s9, v8, vcc_lo
	global_load_b32 v5, v[5:6], off
	s_wait_loadcnt 0x0
	v_subrev_nc_u32_e32 v5, s28, v5
	s_delay_alu instid0(VALU_DEP_1) | instskip(NEXT) | instid1(VALU_DEP_1)
	v_ashrrev_i32_e32 v6, 31, v5
	v_lshlrev_b64_e32 v[9:10], 2, v[5:6]
	s_delay_alu instid0(VALU_DEP_1) | instskip(SKIP_1) | instid1(VALU_DEP_2)
	v_add_co_u32 v11, vcc_lo, s4, v9
	s_wait_alu 0xfffd
	v_add_co_ci_u32_e64 v12, null, s5, v10, vcc_lo
	v_add_co_u32 v22, vcc_lo, s10, v9
	s_wait_alu 0xfffd
	v_add_co_ci_u32_e64 v23, null, s11, v10, vcc_lo
	global_load_b128 v[5:8], v[20:21], off
	global_load_b32 v11, v[11:12], off offset:4
	global_load_b32 v12, v[22:23], off
	v_add_co_u32 v9, vcc_lo, s12, v9
	s_wait_alu 0xfffd
	v_add_co_ci_u32_e64 v10, null, s13, v10, vcc_lo
.LBB44_38:                              ;   Parent Loop BB44_37 Depth=1
                                        ; =>  This Inner Loop Header: Depth=2
	global_load_b32 v22, v[9:10], off scope:SCOPE_DEV
	s_wait_loadcnt 0x0
	v_cmp_ne_u32_e32 vcc_lo, 0, v22
	s_wait_alu 0xfffe
	s_or_b32 s2, vcc_lo, s2
	s_wait_alu 0xfffe
	s_and_not1_b32 exec_lo, exec_lo, s2
	s_cbranch_execnz .LBB44_38
; %bb.39:                               ;   in Loop: Header=BB44_37 Depth=1
	s_or_b32 exec_lo, exec_lo, s2
	v_subrev_nc_u32_e32 v28, s28, v11
	v_cmp_eq_u32_e32 vcc_lo, -1, v12
	global_inv scope:SCOPE_DEV
	s_mov_b32 s15, -1
	v_add_nc_u32_e32 v9, -1, v28
	s_wait_alu 0xfffd
	s_delay_alu instid0(VALU_DEP_1) | instskip(NEXT) | instid1(VALU_DEP_1)
	v_cndmask_b32_e32 v22, v12, v9, vcc_lo
	v_ashrrev_i32_e32 v23, 31, v22
	s_delay_alu instid0(VALU_DEP_1) | instskip(NEXT) | instid1(VALU_DEP_1)
	v_lshlrev_b64_e32 v[9:10], 4, v[22:23]
	v_add_co_u32 v9, vcc_lo, s8, v9
	s_wait_alu 0xfffd
	s_delay_alu instid0(VALU_DEP_2)
	v_add_co_ci_u32_e64 v10, null, s9, v10, vcc_lo
	global_load_b128 v[9:12], v[9:10], off
	s_wait_loadcnt 0x0
	v_cmp_neq_f64_e32 vcc_lo, 0, v[9:10]
	v_cmp_neq_f64_e64 s2, 0, v[11:12]
	s_or_b32 s22, vcc_lo, s2
	s_delay_alu instid0(SALU_CYCLE_1)
	s_and_saveexec_b32 s2, s22
	s_cbranch_execz .LBB44_36
; %bb.40:                               ;   in Loop: Header=BB44_37 Depth=1
	v_mul_f64_e32 v[29:30], v[11:12], v[11:12]
	s_mov_b32 s15, exec_lo
	s_delay_alu instid0(VALU_DEP_1) | instskip(NEXT) | instid1(VALU_DEP_1)
	v_fma_f64 v[29:30], v[9:10], v[9:10], v[29:30]
	v_div_scale_f64 v[31:32], null, v[29:30], v[29:30], 1.0
	v_div_scale_f64 v[37:38], vcc_lo, 1.0, v[29:30], 1.0
	s_delay_alu instid0(VALU_DEP_2) | instskip(NEXT) | instid1(TRANS32_DEP_1)
	v_rcp_f64_e32 v[33:34], v[31:32]
	v_fma_f64 v[35:36], -v[31:32], v[33:34], 1.0
	s_delay_alu instid0(VALU_DEP_1) | instskip(NEXT) | instid1(VALU_DEP_1)
	v_fma_f64 v[33:34], v[33:34], v[35:36], v[33:34]
	v_fma_f64 v[35:36], -v[31:32], v[33:34], 1.0
	s_delay_alu instid0(VALU_DEP_1) | instskip(NEXT) | instid1(VALU_DEP_1)
	v_fma_f64 v[33:34], v[33:34], v[35:36], v[33:34]
	v_mul_f64_e32 v[35:36], v[37:38], v[33:34]
	s_delay_alu instid0(VALU_DEP_1) | instskip(SKIP_3) | instid1(VALU_DEP_3)
	v_fma_f64 v[31:32], -v[31:32], v[35:36], v[37:38]
	v_mul_f64_e32 v[37:38], v[7:8], v[11:12]
	v_mul_f64_e64 v[11:12], v[11:12], -v[5:6]
	s_wait_alu 0xfffd
	v_div_fmas_f64 v[31:32], v[31:32], v[33:34], v[35:36]
	s_delay_alu instid0(VALU_DEP_3) | instskip(NEXT) | instid1(VALU_DEP_3)
	v_fma_f64 v[5:6], v[5:6], v[9:10], v[37:38]
	v_fma_f64 v[7:8], v[7:8], v[9:10], v[11:12]
	v_add_nc_u32_e32 v9, v27, v22
	s_delay_alu instid0(VALU_DEP_4) | instskip(NEXT) | instid1(VALU_DEP_1)
	v_div_fixup_f64 v[29:30], v[31:32], v[29:30], 1.0
	v_mul_f64_e32 v[5:6], v[5:6], v[29:30]
	s_delay_alu instid0(VALU_DEP_4)
	v_mul_f64_e32 v[7:8], v[7:8], v[29:30]
	global_store_b128 v[20:21], v[5:8], off
	v_cmpx_lt_i32_e64 v9, v28
	s_cbranch_execz .LBB44_35
; %bb.41:                               ;   in Loop: Header=BB44_37 Depth=1
	s_mov_b32 s22, 0
	s_branch .LBB44_43
.LBB44_42:                              ;   in Loop: Header=BB44_43 Depth=2
	s_or_b32 exec_lo, exec_lo, s23
	v_add_nc_u32_e32 v9, 32, v9
	s_delay_alu instid0(VALU_DEP_1) | instskip(SKIP_1) | instid1(SALU_CYCLE_1)
	v_cmp_ge_i32_e32 vcc_lo, v9, v28
	s_or_b32 s22, vcc_lo, s22
	s_and_not1_b32 exec_lo, exec_lo, s22
	s_cbranch_execz .LBB44_35
.LBB44_43:                              ;   Parent Loop BB44_37 Depth=1
                                        ; =>  This Loop Header: Depth=2
                                        ;       Child Loop BB44_52 Depth 3
	v_ashrrev_i32_e32 v10, 31, v9
	s_mov_b32 s23, 0
                                        ; implicit-def: $sgpr24
                                        ; implicit-def: $sgpr25
                                        ; implicit-def: $sgpr26
	s_delay_alu instid0(VALU_DEP_1) | instskip(NEXT) | instid1(VALU_DEP_1)
	v_lshlrev_b64_e32 v[11:12], 2, v[9:10]
	v_add_co_u32 v11, vcc_lo, s6, v11
	s_wait_alu 0xfffd
	s_delay_alu instid0(VALU_DEP_2)
	v_add_co_ci_u32_e64 v12, null, s7, v12, vcc_lo
	global_load_b32 v11, v[11:12], off
	v_mov_b32_e32 v12, 0x200
	s_wait_loadcnt 0x0
	v_mul_lo_u32 v21, 0x67, v11
	s_branch .LBB44_52
.LBB44_44:                              ;   in Loop: Header=BB44_52 Depth=3
	s_or_b32 exec_lo, exec_lo, s39
	s_delay_alu instid0(SALU_CYCLE_1)
	s_or_not1_b32 s37, s37, exec_lo
	s_or_not1_b32 s38, s38, exec_lo
.LBB44_45:                              ;   in Loop: Header=BB44_52 Depth=3
	s_or_b32 exec_lo, exec_lo, s36
	s_delay_alu instid0(SALU_CYCLE_1)
	s_and_b32 s37, s37, exec_lo
	s_or_not1_b32 s36, s38, exec_lo
.LBB44_46:                              ;   in Loop: Header=BB44_52 Depth=3
	s_or_b32 exec_lo, exec_lo, s35
	s_delay_alu instid0(SALU_CYCLE_1)
	s_or_not1_b32 s35, s37, exec_lo
	s_or_not1_b32 s36, s36, exec_lo
.LBB44_47:                              ;   in Loop: Header=BB44_52 Depth=3
	s_or_b32 exec_lo, exec_lo, s34
	s_delay_alu instid0(SALU_CYCLE_1)
	s_and_b32 s35, s35, exec_lo
	s_or_not1_b32 s34, s36, exec_lo
.LBB44_48:                              ;   in Loop: Header=BB44_52 Depth=3
	s_or_b32 exec_lo, exec_lo, s33
	s_delay_alu instid0(SALU_CYCLE_1)
	s_or_not1_b32 s33, s35, exec_lo
	s_or_not1_b32 s34, s34, exec_lo
.LBB44_49:                              ;   in Loop: Header=BB44_52 Depth=3
	s_or_b32 exec_lo, exec_lo, s31
	s_delay_alu instid0(SALU_CYCLE_1)
	s_and_b32 s33, s33, exec_lo
	s_or_not1_b32 s31, s34, exec_lo
.LBB44_50:                              ;   in Loop: Header=BB44_52 Depth=3
	s_or_b32 exec_lo, exec_lo, s30
	s_wait_alu 0xfffe
	s_and_not1_b32 s26, s26, exec_lo
	s_and_b32 s30, s33, exec_lo
	s_and_not1_b32 s25, s25, exec_lo
	s_and_b32 s31, s31, exec_lo
	s_wait_alu 0xfffe
	s_or_b32 s26, s26, s30
	s_or_b32 s25, s25, s31
.LBB44_51:                              ;   in Loop: Header=BB44_52 Depth=3
	s_wait_alu 0xfffe
	s_or_b32 exec_lo, exec_lo, s27
	s_delay_alu instid0(SALU_CYCLE_1)
	s_and_b32 s27, exec_lo, s25
	s_wait_alu 0xfffe
	s_or_b32 s23, s27, s23
	s_and_not1_b32 s24, s24, exec_lo
	s_and_b32 s27, s26, exec_lo
	s_wait_alu 0xfffe
	s_or_b32 s24, s24, s27
	s_and_not1_b32 exec_lo, exec_lo, s23
	s_cbranch_execz .LBB44_61
.LBB44_52:                              ;   Parent Loop BB44_37 Depth=1
                                        ;     Parent Loop BB44_43 Depth=2
                                        ; =>    This Inner Loop Header: Depth=3
	s_delay_alu instid0(VALU_DEP_1) | instskip(SKIP_3) | instid1(VALU_DEP_1)
	v_and_b32_e32 v20, 0x1ff, v21
	s_or_b32 s26, s26, exec_lo
	s_or_b32 s25, s25, exec_lo
	s_mov_b32 s27, exec_lo
	v_lshl_add_u32 v22, v20, 2, v26
	ds_load_b32 v22, v22
	s_wait_dscnt 0x0
	v_cmpx_ne_u32_e32 -1, v22
	s_cbranch_execz .LBB44_51
; %bb.53:                               ;   in Loop: Header=BB44_52 Depth=3
	s_mov_b32 s31, -1
	s_mov_b32 s33, 0
	s_mov_b32 s30, exec_lo
	v_cmpx_ne_u32_e64 v22, v11
	s_cbranch_execz .LBB44_50
; %bb.54:                               ;   in Loop: Header=BB44_52 Depth=3
	v_add_nc_u32_e32 v20, 1, v21
	s_mov_b32 s34, -1
	s_mov_b32 s33, -1
	s_mov_b32 s31, exec_lo
	s_delay_alu instid0(VALU_DEP_1) | instskip(NEXT) | instid1(VALU_DEP_1)
	v_and_b32_e32 v20, 0x1ff, v20
	v_lshl_add_u32 v22, v20, 2, v26
	ds_load_b32 v22, v22
	s_wait_dscnt 0x0
	v_cmpx_ne_u32_e32 -1, v22
	s_cbranch_execz .LBB44_49
; %bb.55:                               ;   in Loop: Header=BB44_52 Depth=3
	s_mov_b32 s35, 0
	s_mov_b32 s33, exec_lo
	v_cmpx_ne_u32_e64 v22, v11
	s_cbranch_execz .LBB44_48
; %bb.56:                               ;   in Loop: Header=BB44_52 Depth=3
	v_add_nc_u32_e32 v20, 2, v21
	s_mov_b32 s36, -1
	s_mov_b32 s35, -1
	s_mov_b32 s34, exec_lo
	s_delay_alu instid0(VALU_DEP_1) | instskip(NEXT) | instid1(VALU_DEP_1)
	v_and_b32_e32 v20, 0x1ff, v20
	v_lshl_add_u32 v22, v20, 2, v26
	ds_load_b32 v22, v22
	s_wait_dscnt 0x0
	v_cmpx_ne_u32_e32 -1, v22
	s_cbranch_execz .LBB44_47
; %bb.57:                               ;   in Loop: Header=BB44_52 Depth=3
	s_mov_b32 s37, 0
	s_mov_b32 s35, exec_lo
	v_cmpx_ne_u32_e64 v22, v11
	s_cbranch_execz .LBB44_46
; %bb.58:                               ;   in Loop: Header=BB44_52 Depth=3
	v_add_nc_u32_e32 v20, 3, v21
	s_mov_b32 s38, -1
	s_mov_b32 s37, -1
	s_mov_b32 s36, exec_lo
	s_delay_alu instid0(VALU_DEP_1) | instskip(NEXT) | instid1(VALU_DEP_1)
	v_and_b32_e32 v20, 0x1ff, v20
	v_lshl_add_u32 v21, v20, 2, v26
	ds_load_b32 v22, v21
                                        ; implicit-def: $vgpr21
	s_wait_dscnt 0x0
	v_cmpx_ne_u32_e32 -1, v22
	s_cbranch_execz .LBB44_45
; %bb.59:                               ;   in Loop: Header=BB44_52 Depth=3
	s_mov_b32 s37, 0
	s_mov_b32 s39, exec_lo
                                        ; implicit-def: $vgpr21
	v_cmpx_ne_u32_e64 v22, v11
	s_cbranch_execz .LBB44_44
; %bb.60:                               ;   in Loop: Header=BB44_52 Depth=3
	v_add_nc_u32_e32 v12, -4, v12
	v_add_nc_u32_e32 v21, 1, v20
	s_mov_b32 s37, exec_lo
	s_delay_alu instid0(VALU_DEP_2)
	v_cmp_eq_u32_e32 vcc_lo, 0, v12
	s_or_not1_b32 s38, vcc_lo, exec_lo
	s_branch .LBB44_44
.LBB44_61:                              ;   in Loop: Header=BB44_43 Depth=2
	s_or_b32 exec_lo, exec_lo, s23
	s_wait_alu 0xfffe
	s_xor_b32 s23, s24, -1
	s_delay_alu instid0(SALU_CYCLE_1)
	s_and_saveexec_b32 s24, s23
	s_wait_alu 0xfffe
	s_xor_b32 s23, exec_lo, s24
	s_cbranch_execz .LBB44_42
; %bb.62:                               ;   in Loop: Header=BB44_43 Depth=2
	v_lshl_add_u32 v11, v20, 2, v0
	v_lshlrev_b64_e32 v[20:21], 4, v[9:10]
	ds_load_b32 v11, v11
	v_add_co_u32 v20, vcc_lo, s8, v20
	s_wait_alu 0xfffd
	v_add_co_ci_u32_e64 v21, null, s9, v21, vcc_lo
	s_wait_dscnt 0x0
	v_ashrrev_i32_e32 v12, 31, v11
	s_delay_alu instid0(VALU_DEP_1) | instskip(NEXT) | instid1(VALU_DEP_1)
	v_lshlrev_b64_e32 v[10:11], 4, v[11:12]
	v_add_co_u32 v10, vcc_lo, s8, v10
	s_wait_alu 0xfffd
	s_delay_alu instid0(VALU_DEP_2)
	v_add_co_ci_u32_e64 v11, null, s9, v11, vcc_lo
	s_clause 0x1
	global_load_b128 v[20:23], v[20:21], off
	global_load_b128 v[29:32], v[10:11], off
	s_wait_loadcnt 0x0
	v_fma_f64 v[29:30], -v[5:6], v[20:21], v[29:30]
	v_fma_f64 v[31:32], -v[7:8], v[20:21], v[31:32]
	s_delay_alu instid0(VALU_DEP_2) | instskip(NEXT) | instid1(VALU_DEP_2)
	v_fma_f64 v[20:21], v[7:8], v[22:23], v[29:30]
	v_fma_f64 v[22:23], -v[5:6], v[22:23], v[31:32]
	global_store_b128 v[10:11], v[20:23], off
	s_branch .LBB44_42
.LBB44_63:
	s_wait_alu 0xfffe
	s_or_b32 exec_lo, exec_lo, s3
	s_delay_alu instid0(SALU_CYCLE_1)
	s_mov_b32 s3, exec_lo
	s_wait_loadcnt 0x0
	s_wait_storecnt 0x0
	global_inv scope:SCOPE_SE
	v_cmpx_lt_i32_e32 -1, v18
	s_cbranch_execz .LBB44_85
; %bb.64:
	v_mov_b32_e32 v19, 0
	s_mov_b32 s2, exec_lo
	s_delay_alu instid0(VALU_DEP_1) | instskip(NEXT) | instid1(VALU_DEP_1)
	v_lshlrev_b64_e32 v[5:6], 4, v[18:19]
	v_add_co_u32 v9, vcc_lo, s8, v5
	s_wait_alu 0xfffd
	s_delay_alu instid0(VALU_DEP_2)
	v_add_co_ci_u32_e64 v10, null, s9, v6, vcc_lo
	global_load_b128 v[5:8], v[9:10], off
	s_wait_loadcnt 0x0
	v_cmp_gt_f64_e32 vcc_lo, 0, v[5:6]
	v_xor_b32_e32 v0, 0x80000000, v6
	v_xor_b32_e32 v18, 0x80000000, v8
	v_dual_mov_b32 v11, v5 :: v_dual_mov_b32 v20, v7
	s_wait_alu 0xfffd
	s_delay_alu instid0(VALU_DEP_3) | instskip(SKIP_3) | instid1(VALU_DEP_1)
	v_cndmask_b32_e32 v12, v6, v0, vcc_lo
	v_cmp_gt_f64_e32 vcc_lo, 0, v[7:8]
	s_wait_alu 0xfffd
	v_cndmask_b32_e32 v21, v8, v18, vcc_lo
                                        ; implicit-def: $vgpr18_vgpr19
	v_cmpx_ngt_f64_e32 v[11:12], v[20:21]
	s_wait_alu 0xfffe
	s_xor_b32 s2, exec_lo, s2
	s_cbranch_execz .LBB44_68
; %bb.65:
	v_mov_b32_e32 v18, 0
	v_mov_b32_e32 v19, 0
	s_mov_b32 s4, exec_lo
	v_cmpx_neq_f64_e32 0, v[7:8]
	s_cbranch_execz .LBB44_67
; %bb.66:
	v_div_scale_f64 v[18:19], null, v[20:21], v[20:21], v[11:12]
	v_div_scale_f64 v[28:29], vcc_lo, v[11:12], v[20:21], v[11:12]
	s_delay_alu instid0(VALU_DEP_2) | instskip(NEXT) | instid1(TRANS32_DEP_1)
	v_rcp_f64_e32 v[22:23], v[18:19]
	v_fma_f64 v[26:27], -v[18:19], v[22:23], 1.0
	s_delay_alu instid0(VALU_DEP_1) | instskip(NEXT) | instid1(VALU_DEP_1)
	v_fma_f64 v[22:23], v[22:23], v[26:27], v[22:23]
	v_fma_f64 v[26:27], -v[18:19], v[22:23], 1.0
	s_delay_alu instid0(VALU_DEP_1) | instskip(NEXT) | instid1(VALU_DEP_1)
	v_fma_f64 v[22:23], v[22:23], v[26:27], v[22:23]
	v_mul_f64_e32 v[26:27], v[28:29], v[22:23]
	s_delay_alu instid0(VALU_DEP_1) | instskip(SKIP_1) | instid1(VALU_DEP_1)
	v_fma_f64 v[18:19], -v[18:19], v[26:27], v[28:29]
	s_wait_alu 0xfffd
	v_div_fmas_f64 v[18:19], v[18:19], v[22:23], v[26:27]
	s_delay_alu instid0(VALU_DEP_1) | instskip(NEXT) | instid1(VALU_DEP_1)
	v_div_fixup_f64 v[11:12], v[18:19], v[20:21], v[11:12]
	v_fma_f64 v[11:12], v[11:12], v[11:12], 1.0
	s_delay_alu instid0(VALU_DEP_1) | instskip(SKIP_2) | instid1(VALU_DEP_1)
	v_cmp_gt_f64_e32 vcc_lo, 0x10000000, v[11:12]
	s_wait_alu 0xfffd
	v_cndmask_b32_e64 v0, 0, 0x100, vcc_lo
	v_ldexp_f64 v[11:12], v[11:12], v0
	v_cndmask_b32_e64 v0, 0, 0xffffff80, vcc_lo
	s_delay_alu instid0(VALU_DEP_2) | instskip(SKIP_1) | instid1(TRANS32_DEP_1)
	v_rsq_f64_e32 v[18:19], v[11:12]
	v_cmp_class_f64_e64 vcc_lo, v[11:12], 0x260
	v_mul_f64_e32 v[22:23], v[11:12], v[18:19]
	v_mul_f64_e32 v[18:19], 0.5, v[18:19]
	s_delay_alu instid0(VALU_DEP_1) | instskip(NEXT) | instid1(VALU_DEP_1)
	v_fma_f64 v[26:27], -v[18:19], v[22:23], 0.5
	v_fma_f64 v[22:23], v[22:23], v[26:27], v[22:23]
	v_fma_f64 v[18:19], v[18:19], v[26:27], v[18:19]
	s_delay_alu instid0(VALU_DEP_2) | instskip(NEXT) | instid1(VALU_DEP_1)
	v_fma_f64 v[26:27], -v[22:23], v[22:23], v[11:12]
	v_fma_f64 v[22:23], v[26:27], v[18:19], v[22:23]
	s_delay_alu instid0(VALU_DEP_1) | instskip(NEXT) | instid1(VALU_DEP_1)
	v_fma_f64 v[26:27], -v[22:23], v[22:23], v[11:12]
	v_fma_f64 v[18:19], v[26:27], v[18:19], v[22:23]
	s_delay_alu instid0(VALU_DEP_1) | instskip(SKIP_1) | instid1(VALU_DEP_1)
	v_ldexp_f64 v[18:19], v[18:19], v0
	s_wait_alu 0xfffd
	v_dual_cndmask_b32 v12, v19, v12 :: v_dual_cndmask_b32 v11, v18, v11
	s_delay_alu instid0(VALU_DEP_1)
	v_mul_f64_e32 v[18:19], v[20:21], v[11:12]
.LBB44_67:
	s_wait_alu 0xfffe
	s_or_b32 exec_lo, exec_lo, s4
                                        ; implicit-def: $vgpr11_vgpr12
                                        ; implicit-def: $vgpr20_vgpr21
.LBB44_68:
	s_wait_alu 0xfffe
	s_and_not1_saveexec_b32 s2, s2
	s_cbranch_execz .LBB44_70
; %bb.69:
	v_div_scale_f64 v[18:19], null, v[11:12], v[11:12], v[20:21]
	v_div_scale_f64 v[28:29], vcc_lo, v[20:21], v[11:12], v[20:21]
	s_delay_alu instid0(VALU_DEP_2) | instskip(NEXT) | instid1(TRANS32_DEP_1)
	v_rcp_f64_e32 v[22:23], v[18:19]
	v_fma_f64 v[26:27], -v[18:19], v[22:23], 1.0
	s_delay_alu instid0(VALU_DEP_1) | instskip(NEXT) | instid1(VALU_DEP_1)
	v_fma_f64 v[22:23], v[22:23], v[26:27], v[22:23]
	v_fma_f64 v[26:27], -v[18:19], v[22:23], 1.0
	s_delay_alu instid0(VALU_DEP_1) | instskip(NEXT) | instid1(VALU_DEP_1)
	v_fma_f64 v[22:23], v[22:23], v[26:27], v[22:23]
	v_mul_f64_e32 v[26:27], v[28:29], v[22:23]
	s_delay_alu instid0(VALU_DEP_1) | instskip(SKIP_1) | instid1(VALU_DEP_1)
	v_fma_f64 v[18:19], -v[18:19], v[26:27], v[28:29]
	s_wait_alu 0xfffd
	v_div_fmas_f64 v[18:19], v[18:19], v[22:23], v[26:27]
	s_delay_alu instid0(VALU_DEP_1) | instskip(NEXT) | instid1(VALU_DEP_1)
	v_div_fixup_f64 v[18:19], v[18:19], v[11:12], v[20:21]
	v_fma_f64 v[18:19], v[18:19], v[18:19], 1.0
	s_delay_alu instid0(VALU_DEP_1) | instskip(SKIP_2) | instid1(VALU_DEP_1)
	v_cmp_gt_f64_e32 vcc_lo, 0x10000000, v[18:19]
	s_wait_alu 0xfffd
	v_cndmask_b32_e64 v0, 0, 0x100, vcc_lo
	v_ldexp_f64 v[18:19], v[18:19], v0
	v_cndmask_b32_e64 v0, 0, 0xffffff80, vcc_lo
	s_delay_alu instid0(VALU_DEP_2) | instskip(SKIP_1) | instid1(TRANS32_DEP_1)
	v_rsq_f64_e32 v[20:21], v[18:19]
	v_cmp_class_f64_e64 vcc_lo, v[18:19], 0x260
	v_mul_f64_e32 v[22:23], v[18:19], v[20:21]
	v_mul_f64_e32 v[20:21], 0.5, v[20:21]
	s_delay_alu instid0(VALU_DEP_1) | instskip(NEXT) | instid1(VALU_DEP_1)
	v_fma_f64 v[26:27], -v[20:21], v[22:23], 0.5
	v_fma_f64 v[22:23], v[22:23], v[26:27], v[22:23]
	v_fma_f64 v[20:21], v[20:21], v[26:27], v[20:21]
	s_delay_alu instid0(VALU_DEP_2) | instskip(NEXT) | instid1(VALU_DEP_1)
	v_fma_f64 v[26:27], -v[22:23], v[22:23], v[18:19]
	v_fma_f64 v[22:23], v[26:27], v[20:21], v[22:23]
	s_delay_alu instid0(VALU_DEP_1) | instskip(NEXT) | instid1(VALU_DEP_1)
	v_fma_f64 v[26:27], -v[22:23], v[22:23], v[18:19]
	v_fma_f64 v[20:21], v[26:27], v[20:21], v[22:23]
	s_delay_alu instid0(VALU_DEP_1) | instskip(SKIP_1) | instid1(VALU_DEP_1)
	v_ldexp_f64 v[20:21], v[20:21], v0
	s_wait_alu 0xfffd
	v_dual_cndmask_b32 v19, v21, v19 :: v_dual_cndmask_b32 v18, v20, v18
	s_delay_alu instid0(VALU_DEP_1)
	v_mul_f64_e32 v[18:19], v[11:12], v[18:19]
.LBB44_70:
	s_wait_alu 0xfffe
	s_or_b32 exec_lo, exec_lo, s2
	v_cmp_ne_u32_e32 vcc_lo, 1, v25
	v_cmp_eq_u32_e64 s2, 0, v24
	s_mov_b32 s4, -1
	s_cbranch_vccnz .LBB44_74
; %bb.71:
	v_cvt_f64_f32_e32 v[11:12], s29
	s_cmp_eq_u64 s[20:21], 8
	s_cselect_b32 vcc_lo, -1, 0
	s_wait_alu 0xfffe
	s_delay_alu instid0(VALU_DEP_1) | instskip(NEXT) | instid1(VALU_DEP_1)
	v_dual_cndmask_b32 v12, v12, v16 :: v_dual_cndmask_b32 v11, v11, v15
	v_cmp_le_f64_e32 vcc_lo, v[18:19], v[11:12]
	s_and_b32 s5, s2, vcc_lo
	s_wait_alu 0xfffe
	s_and_saveexec_b32 s4, s5
	s_cbranch_execz .LBB44_73
; %bb.72:
	global_store_b128 v[9:10], v[1:4], off
	s_wait_storecnt 0x0
	global_inv scope:SCOPE_DEV
.LBB44_73:
	s_wait_alu 0xfffe
	s_or_b32 exec_lo, exec_lo, s4
	s_mov_b32 s4, 0
.LBB44_74:
	s_wait_alu 0xfffe
	s_and_not1_b32 vcc_lo, exec_lo, s4
	s_wait_alu 0xfffe
	s_cbranch_vccnz .LBB44_85
; %bb.75:
	s_load_b64 s[0:1], s[0:1], 0x48
	v_add_nc_u32_e32 v0, s28, v17
	s_wait_kmcnt 0x0
	v_cmp_ge_f64_e32 vcc_lo, s[0:1], v[18:19]
	s_and_b32 s1, s2, vcc_lo
	s_wait_alu 0xfffe
	s_and_saveexec_b32 s0, s1
	s_cbranch_execz .LBB44_80
; %bb.76:
	s_mov_b32 s4, exec_lo
	s_brev_b32 s1, -2
.LBB44_77:                              ; =>This Inner Loop Header: Depth=1
	s_wait_alu 0xfffe
	s_ctz_i32_b32 s5, s4
	s_wait_alu 0xfffe
	v_readlane_b32 s6, v0, s5
	s_lshl_b32 s5, 1, s5
	s_wait_alu 0xfffe
	s_and_not1_b32 s4, s4, s5
	s_min_i32 s1, s1, s6
	s_wait_alu 0xfffe
	s_cmp_lg_u32 s4, 0
	s_cbranch_scc1 .LBB44_77
; %bb.78:
	v_mbcnt_lo_u32_b32 v1, exec_lo, 0
	s_mov_b32 s4, exec_lo
	s_delay_alu instid0(VALU_DEP_1)
	v_cmpx_eq_u32_e32 0, v1
	s_wait_alu 0xfffe
	s_xor_b32 s4, exec_lo, s4
	s_cbranch_execz .LBB44_80
; %bb.79:
	v_dual_mov_b32 v1, 0 :: v_dual_mov_b32 v2, s1
	global_atomic_min_i32 v1, v2, s[18:19] scope:SCOPE_DEV
.LBB44_80:
	s_wait_alu 0xfffe
	s_or_b32 exec_lo, exec_lo, s0
	v_cmp_eq_f64_e32 vcc_lo, 0, v[5:6]
	v_cmp_eq_f64_e64 s0, 0, v[7:8]
	s_and_b32 s0, vcc_lo, s0
	s_wait_alu 0xfffe
	s_and_b32 s0, s2, s0
	s_wait_alu 0xfffe
	s_and_b32 exec_lo, exec_lo, s0
	s_cbranch_execz .LBB44_85
; %bb.81:
	s_mov_b32 s1, exec_lo
	s_brev_b32 s0, -2
.LBB44_82:                              ; =>This Inner Loop Header: Depth=1
	s_wait_alu 0xfffe
	s_ctz_i32_b32 s2, s1
	s_wait_alu 0xfffe
	v_readlane_b32 s4, v0, s2
	s_lshl_b32 s2, 1, s2
	s_wait_alu 0xfffe
	s_and_not1_b32 s1, s1, s2
	s_min_i32 s0, s0, s4
	s_wait_alu 0xfffe
	s_cmp_lg_u32 s1, 0
	s_cbranch_scc1 .LBB44_82
; %bb.83:
	v_mbcnt_lo_u32_b32 v0, exec_lo, 0
	s_mov_b32 s1, exec_lo
	s_delay_alu instid0(VALU_DEP_1)
	v_cmpx_eq_u32_e32 0, v0
	s_wait_alu 0xfffe
	s_xor_b32 s1, exec_lo, s1
	s_cbranch_execz .LBB44_85
; %bb.84:
	v_dual_mov_b32 v0, 0 :: v_dual_mov_b32 v1, s0
	global_atomic_min_i32 v0, v1, s[16:17] scope:SCOPE_DEV
.LBB44_85:
	s_wait_alu 0xfffe
	s_or_b32 exec_lo, exec_lo, s3
	v_cmp_eq_u32_e32 vcc_lo, 0, v24
	s_wait_loadcnt 0x0
	s_wait_storecnt 0x0
	global_inv scope:SCOPE_DEV
	s_and_b32 exec_lo, exec_lo, vcc_lo
	s_cbranch_execz .LBB44_87
; %bb.86:
	v_add_co_u32 v0, vcc_lo, s12, v13
	s_wait_alu 0xfffd
	v_add_co_ci_u32_e64 v1, null, s13, v14, vcc_lo
	v_mov_b32_e32 v2, 1
	s_wait_loadcnt 0x0
	global_store_b32 v[0:1], v2, off scope:SCOPE_DEV
.LBB44_87:
	s_endpgm
	.section	.rodata,"a",@progbits
	.p2align	6, 0x0
	.amdhsa_kernel _ZN9rocsparseL12csrilu0_hashILj256ELj32ELj16E21rocsparse_complex_numIdEEEviPKiS4_PT2_S4_PiS4_S7_S7_d21rocsparse_index_base_imNS_24const_host_device_scalarIfEENS9_IdEENS9_IS5_EEb
		.amdhsa_group_segment_fixed_size 32768
		.amdhsa_private_segment_fixed_size 16
		.amdhsa_kernarg_size 132
		.amdhsa_user_sgpr_count 2
		.amdhsa_user_sgpr_dispatch_ptr 0
		.amdhsa_user_sgpr_queue_ptr 0
		.amdhsa_user_sgpr_kernarg_segment_ptr 1
		.amdhsa_user_sgpr_dispatch_id 0
		.amdhsa_user_sgpr_private_segment_size 0
		.amdhsa_wavefront_size32 1
		.amdhsa_uses_dynamic_stack 0
		.amdhsa_enable_private_segment 1
		.amdhsa_system_sgpr_workgroup_id_x 1
		.amdhsa_system_sgpr_workgroup_id_y 0
		.amdhsa_system_sgpr_workgroup_id_z 0
		.amdhsa_system_sgpr_workgroup_info 0
		.amdhsa_system_vgpr_workitem_id 0
		.amdhsa_next_free_vgpr 169
		.amdhsa_next_free_sgpr 40
		.amdhsa_reserve_vcc 1
		.amdhsa_float_round_mode_32 0
		.amdhsa_float_round_mode_16_64 0
		.amdhsa_float_denorm_mode_32 3
		.amdhsa_float_denorm_mode_16_64 3
		.amdhsa_fp16_overflow 0
		.amdhsa_workgroup_processor_mode 1
		.amdhsa_memory_ordered 1
		.amdhsa_forward_progress 1
		.amdhsa_inst_pref_size 33
		.amdhsa_round_robin_scheduling 0
		.amdhsa_exception_fp_ieee_invalid_op 0
		.amdhsa_exception_fp_denorm_src 0
		.amdhsa_exception_fp_ieee_div_zero 0
		.amdhsa_exception_fp_ieee_overflow 0
		.amdhsa_exception_fp_ieee_underflow 0
		.amdhsa_exception_fp_ieee_inexact 0
		.amdhsa_exception_int_div_zero 0
	.end_amdhsa_kernel
	.section	.text._ZN9rocsparseL12csrilu0_hashILj256ELj32ELj16E21rocsparse_complex_numIdEEEviPKiS4_PT2_S4_PiS4_S7_S7_d21rocsparse_index_base_imNS_24const_host_device_scalarIfEENS9_IdEENS9_IS5_EEb,"axG",@progbits,_ZN9rocsparseL12csrilu0_hashILj256ELj32ELj16E21rocsparse_complex_numIdEEEviPKiS4_PT2_S4_PiS4_S7_S7_d21rocsparse_index_base_imNS_24const_host_device_scalarIfEENS9_IdEENS9_IS5_EEb,comdat
.Lfunc_end44:
	.size	_ZN9rocsparseL12csrilu0_hashILj256ELj32ELj16E21rocsparse_complex_numIdEEEviPKiS4_PT2_S4_PiS4_S7_S7_d21rocsparse_index_base_imNS_24const_host_device_scalarIfEENS9_IdEENS9_IS5_EEb, .Lfunc_end44-_ZN9rocsparseL12csrilu0_hashILj256ELj32ELj16E21rocsparse_complex_numIdEEEviPKiS4_PT2_S4_PiS4_S7_S7_d21rocsparse_index_base_imNS_24const_host_device_scalarIfEENS9_IdEENS9_IS5_EEb
                                        ; -- End function
	.set _ZN9rocsparseL12csrilu0_hashILj256ELj32ELj16E21rocsparse_complex_numIdEEEviPKiS4_PT2_S4_PiS4_S7_S7_d21rocsparse_index_base_imNS_24const_host_device_scalarIfEENS9_IdEENS9_IS5_EEb.num_vgpr, 39
	.set _ZN9rocsparseL12csrilu0_hashILj256ELj32ELj16E21rocsparse_complex_numIdEEEviPKiS4_PT2_S4_PiS4_S7_S7_d21rocsparse_index_base_imNS_24const_host_device_scalarIfEENS9_IdEENS9_IS5_EEb.num_agpr, 0
	.set _ZN9rocsparseL12csrilu0_hashILj256ELj32ELj16E21rocsparse_complex_numIdEEEviPKiS4_PT2_S4_PiS4_S7_S7_d21rocsparse_index_base_imNS_24const_host_device_scalarIfEENS9_IdEENS9_IS5_EEb.numbered_sgpr, 40
	.set _ZN9rocsparseL12csrilu0_hashILj256ELj32ELj16E21rocsparse_complex_numIdEEEviPKiS4_PT2_S4_PiS4_S7_S7_d21rocsparse_index_base_imNS_24const_host_device_scalarIfEENS9_IdEENS9_IS5_EEb.num_named_barrier, 0
	.set _ZN9rocsparseL12csrilu0_hashILj256ELj32ELj16E21rocsparse_complex_numIdEEEviPKiS4_PT2_S4_PiS4_S7_S7_d21rocsparse_index_base_imNS_24const_host_device_scalarIfEENS9_IdEENS9_IS5_EEb.private_seg_size, 16
	.set _ZN9rocsparseL12csrilu0_hashILj256ELj32ELj16E21rocsparse_complex_numIdEEEviPKiS4_PT2_S4_PiS4_S7_S7_d21rocsparse_index_base_imNS_24const_host_device_scalarIfEENS9_IdEENS9_IS5_EEb.uses_vcc, 1
	.set _ZN9rocsparseL12csrilu0_hashILj256ELj32ELj16E21rocsparse_complex_numIdEEEviPKiS4_PT2_S4_PiS4_S7_S7_d21rocsparse_index_base_imNS_24const_host_device_scalarIfEENS9_IdEENS9_IS5_EEb.uses_flat_scratch, 0
	.set _ZN9rocsparseL12csrilu0_hashILj256ELj32ELj16E21rocsparse_complex_numIdEEEviPKiS4_PT2_S4_PiS4_S7_S7_d21rocsparse_index_base_imNS_24const_host_device_scalarIfEENS9_IdEENS9_IS5_EEb.has_dyn_sized_stack, 0
	.set _ZN9rocsparseL12csrilu0_hashILj256ELj32ELj16E21rocsparse_complex_numIdEEEviPKiS4_PT2_S4_PiS4_S7_S7_d21rocsparse_index_base_imNS_24const_host_device_scalarIfEENS9_IdEENS9_IS5_EEb.has_recursion, 0
	.set _ZN9rocsparseL12csrilu0_hashILj256ELj32ELj16E21rocsparse_complex_numIdEEEviPKiS4_PT2_S4_PiS4_S7_S7_d21rocsparse_index_base_imNS_24const_host_device_scalarIfEENS9_IdEENS9_IS5_EEb.has_indirect_call, 0
	.section	.AMDGPU.csdata,"",@progbits
; Kernel info:
; codeLenInByte = 4140
; TotalNumSgprs: 42
; NumVgprs: 39
; ScratchSize: 16
; MemoryBound: 0
; FloatMode: 240
; IeeeMode: 1
; LDSByteSize: 32768 bytes/workgroup (compile time only)
; SGPRBlocks: 0
; VGPRBlocks: 21
; NumSGPRsForWavesPerEU: 42
; NumVGPRsForWavesPerEU: 169
; Occupancy: 8
; WaveLimiterHint : 1
; COMPUTE_PGM_RSRC2:SCRATCH_EN: 1
; COMPUTE_PGM_RSRC2:USER_SGPR: 2
; COMPUTE_PGM_RSRC2:TRAP_HANDLER: 0
; COMPUTE_PGM_RSRC2:TGID_X_EN: 1
; COMPUTE_PGM_RSRC2:TGID_Y_EN: 0
; COMPUTE_PGM_RSRC2:TGID_Z_EN: 0
; COMPUTE_PGM_RSRC2:TIDIG_COMP_CNT: 0
	.section	.text._ZN9rocsparseL17csrilu0_binsearchILj256ELj32ELb0E21rocsparse_complex_numIdEEEviPKiS4_PT2_S4_PiS4_S7_S7_d21rocsparse_index_base_imNS_24const_host_device_scalarIfEENS9_IdEENS9_IS5_EEb,"axG",@progbits,_ZN9rocsparseL17csrilu0_binsearchILj256ELj32ELb0E21rocsparse_complex_numIdEEEviPKiS4_PT2_S4_PiS4_S7_S7_d21rocsparse_index_base_imNS_24const_host_device_scalarIfEENS9_IdEENS9_IS5_EEb,comdat
	.globl	_ZN9rocsparseL17csrilu0_binsearchILj256ELj32ELb0E21rocsparse_complex_numIdEEEviPKiS4_PT2_S4_PiS4_S7_S7_d21rocsparse_index_base_imNS_24const_host_device_scalarIfEENS9_IdEENS9_IS5_EEb ; -- Begin function _ZN9rocsparseL17csrilu0_binsearchILj256ELj32ELb0E21rocsparse_complex_numIdEEEviPKiS4_PT2_S4_PiS4_S7_S7_d21rocsparse_index_base_imNS_24const_host_device_scalarIfEENS9_IdEENS9_IS5_EEb
	.p2align	8
	.type	_ZN9rocsparseL17csrilu0_binsearchILj256ELj32ELb0E21rocsparse_complex_numIdEEEviPKiS4_PT2_S4_PiS4_S7_S7_d21rocsparse_index_base_imNS_24const_host_device_scalarIfEENS9_IdEENS9_IS5_EEb,@function
_ZN9rocsparseL17csrilu0_binsearchILj256ELj32ELb0E21rocsparse_complex_numIdEEEviPKiS4_PT2_S4_PiS4_S7_S7_d21rocsparse_index_base_imNS_24const_host_device_scalarIfEENS9_IdEENS9_IS5_EEb: ; @_ZN9rocsparseL17csrilu0_binsearchILj256ELj32ELb0E21rocsparse_complex_numIdEEEviPKiS4_PT2_S4_PiS4_S7_S7_d21rocsparse_index_base_imNS_24const_host_device_scalarIfEENS9_IdEENS9_IS5_EEb
; %bb.0:
	s_clause 0x2
	s_load_b96 s[4:6], s[0:1], 0x78
	s_load_b64 s[28:29], s[0:1], 0x50
	s_load_b256 s[20:27], s[0:1], 0x58
	s_wait_kmcnt 0x0
	s_bitcmp1_b32 s6, 0
	s_cselect_b32 s6, -1, 0
	s_cmp_eq_u32 s29, 0
	v_dual_mov_b32 v1, s26 :: v_dual_mov_b32 v2, s27
	s_cselect_b32 s2, -1, 0
	s_cmp_lg_u32 s29, 0
	s_cselect_b32 s7, -1, 0
	s_or_b32 s9, s2, s6
	scratch_store_b64 off, v[1:2], off
	s_xor_b32 s8, s9, -1
	s_and_b32 s2, s2, exec_lo
	s_cselect_b32 s3, 0, s25
	s_cselect_b32 s2, 0, s24
	;; [unrolled: 1-line block ×3, first 2 shown]
	s_and_b32 vcc_lo, exec_lo, s9
	s_cbranch_vccnz .LBB45_2
; %bb.1:
	s_load_b32 s29, s[22:23], 0x0
	s_mov_b64 s[2:3], s[24:25]
.LBB45_2:
	s_delay_alu instid0(SALU_CYCLE_1)
	v_dual_mov_b32 v16, s3 :: v_dual_mov_b32 v15, s2
	s_and_not1_b32 vcc_lo, exec_lo, s8
	s_cbranch_vccnz .LBB45_4
; %bb.3:
	v_dual_mov_b32 v1, s24 :: v_dual_mov_b32 v2, s25
	flat_load_b64 v[15:16], v[1:2]
.LBB45_4:
	v_mov_b32_e32 v1, 0
	v_dual_mov_b32 v2, 0 :: v_dual_mov_b32 v3, 0
	v_cndmask_b32_e64 v24, 0, 1, s7
	v_mov_b32_e32 v4, 0
	s_and_not1_b32 vcc_lo, exec_lo, s7
	s_cbranch_vccnz .LBB45_7
; %bb.5:
	s_mov_b64 s[2:3], src_private_base
	s_xor_b32 s2, s6, -1
	s_and_b32 s6, s6, exec_lo
	s_cselect_b32 s6, 0, s26
	s_wait_alu 0xfffe
	s_cselect_b32 s3, s3, s27
	s_wait_alu 0xfffe
	v_dual_mov_b32 v1, s6 :: v_dual_mov_b32 v2, s3
	v_dual_mov_b32 v3, s4 :: v_dual_mov_b32 v4, s5
	s_and_not1_b32 vcc_lo, exec_lo, s2
	flat_load_b64 v[1:2], v[1:2]
	s_cbranch_vccnz .LBB45_7
; %bb.6:
	v_dual_mov_b32 v3, s26 :: v_dual_mov_b32 v4, s27
	flat_load_b64 v[3:4], v[3:4] offset:8
.LBB45_7:
	s_load_b32 s2, s[0:1], 0x0
	v_lshrrev_b32_e32 v5, 5, v0
	s_lshl_b32 s3, ttmp9, 3
	s_wait_alu 0xfffe
	s_delay_alu instid0(VALU_DEP_1) | instskip(SKIP_1) | instid1(VALU_DEP_1)
	v_and_or_b32 v5, 0x7fffff8, s3, v5
	s_wait_kmcnt 0x0
	v_cmp_gt_i32_e32 vcc_lo, s2, v5
	s_and_saveexec_b32 s2, vcc_lo
	s_cbranch_execz .LBB45_49
; %bb.8:
	s_load_b512 s[4:19], s[0:1], 0x8
	v_lshlrev_b32_e32 v5, 2, v5
	v_and_b32_e32 v0, 31, v0
	s_mov_b32 s3, exec_lo
	s_wait_kmcnt 0x0
	global_load_b32 v17, v5, s[14:15]
	s_wait_loadcnt 0x0
	v_ashrrev_i32_e32 v18, 31, v17
	s_delay_alu instid0(VALU_DEP_1) | instskip(NEXT) | instid1(VALU_DEP_1)
	v_lshlrev_b64_e32 v[13:14], 2, v[17:18]
	v_add_co_u32 v5, vcc_lo, s4, v13
	s_delay_alu instid0(VALU_DEP_1)
	v_add_co_ci_u32_e64 v6, null, s5, v14, vcc_lo
	v_add_co_u32 v7, vcc_lo, s10, v13
	s_wait_alu 0xfffd
	v_add_co_ci_u32_e64 v8, null, s11, v14, vcc_lo
	global_load_b32 v9, v[5:6], off
	global_load_b32 v18, v[7:8], off
	s_wait_loadcnt 0x1
	v_subrev_nc_u32_e32 v19, s28, v9
	s_wait_loadcnt 0x0
	s_delay_alu instid0(VALU_DEP_1)
	v_cmpx_lt_i32_e64 v19, v18
	s_cbranch_execz .LBB45_25
; %bb.9:
	global_load_b32 v5, v[5:6], off offset:4
	v_add_nc_u32_e32 v25, 1, v0
	s_mov_b32 s14, 0
	s_wait_loadcnt 0x0
	v_xad_u32 v26, s28, -1, v5
	s_branch .LBB45_12
.LBB45_10:                              ;   in Loop: Header=BB45_12 Depth=1
	s_or_b32 exec_lo, exec_lo, s15
	v_cmp_ge_i32_e32 vcc_lo, v19, v18
	s_or_not1_b32 s15, vcc_lo, exec_lo
.LBB45_11:                              ;   in Loop: Header=BB45_12 Depth=1
	s_wait_alu 0xfffe
	s_or_b32 exec_lo, exec_lo, s2
	s_delay_alu instid0(SALU_CYCLE_1) | instskip(SKIP_2) | instid1(SALU_CYCLE_1)
	s_and_b32 s2, exec_lo, s15
	s_wait_alu 0xfffe
	s_or_b32 s14, s2, s14
	s_and_not1_b32 exec_lo, exec_lo, s14
	s_cbranch_execz .LBB45_25
.LBB45_12:                              ; =>This Loop Header: Depth=1
                                        ;     Child Loop BB45_14 Depth 2
                                        ;     Child Loop BB45_19 Depth 2
                                        ;       Child Loop BB45_21 Depth 3
	v_ashrrev_i32_e32 v20, 31, v19
	s_mov_b32 s2, exec_lo
	s_delay_alu instid0(VALU_DEP_1) | instskip(SKIP_1) | instid1(VALU_DEP_2)
	v_lshlrev_b64_e32 v[5:6], 2, v[19:20]
	v_lshlrev_b64_e32 v[7:8], 4, v[19:20]
	v_add_co_u32 v5, vcc_lo, s6, v5
	s_wait_alu 0xfffd
	s_delay_alu instid0(VALU_DEP_3) | instskip(NEXT) | instid1(VALU_DEP_3)
	v_add_co_ci_u32_e64 v6, null, s7, v6, vcc_lo
	v_add_co_u32 v20, vcc_lo, s8, v7
	s_wait_alu 0xfffd
	v_add_co_ci_u32_e64 v21, null, s9, v8, vcc_lo
	global_load_b32 v5, v[5:6], off
	s_wait_loadcnt 0x0
	v_subrev_nc_u32_e32 v5, s28, v5
	s_delay_alu instid0(VALU_DEP_1) | instskip(NEXT) | instid1(VALU_DEP_1)
	v_ashrrev_i32_e32 v6, 31, v5
	v_lshlrev_b64_e32 v[5:6], 2, v[5:6]
	s_delay_alu instid0(VALU_DEP_1) | instskip(SKIP_1) | instid1(VALU_DEP_2)
	v_add_co_u32 v11, vcc_lo, s4, v5
	s_wait_alu 0xfffd
	v_add_co_ci_u32_e64 v12, null, s5, v6, vcc_lo
	v_add_co_u32 v22, vcc_lo, s10, v5
	s_wait_alu 0xfffd
	v_add_co_ci_u32_e64 v23, null, s11, v6, vcc_lo
	;; [unrolled: 3-line block ×3, first 2 shown]
	global_load_b128 v[5:8], v[20:21], off
	global_load_b32 v12, v[11:12], off offset:4
	global_load_b32 v11, v[22:23], off
	global_load_b32 v22, v[9:10], off scope:SCOPE_DEV
	s_wait_loadcnt 0x0
	v_cmpx_eq_u32_e32 0, v22
	s_cbranch_execz .LBB45_15
; %bb.13:                               ;   in Loop: Header=BB45_12 Depth=1
	s_mov_b32 s15, 0
.LBB45_14:                              ;   Parent Loop BB45_12 Depth=1
                                        ; =>  This Inner Loop Header: Depth=2
	global_load_b32 v22, v[9:10], off scope:SCOPE_DEV
	s_wait_loadcnt 0x0
	v_cmp_ne_u32_e32 vcc_lo, 0, v22
	s_or_b32 s15, vcc_lo, s15
	s_delay_alu instid0(SALU_CYCLE_1)
	s_and_not1_b32 exec_lo, exec_lo, s15
	s_cbranch_execnz .LBB45_14
.LBB45_15:                              ;   in Loop: Header=BB45_12 Depth=1
	s_wait_alu 0xfffe
	s_or_b32 exec_lo, exec_lo, s2
	v_subrev_nc_u32_e32 v27, s28, v12
	v_cmp_eq_u32_e32 vcc_lo, -1, v11
	s_wait_storecnt_dscnt 0x0
	global_inv scope:SCOPE_DEV
	s_mov_b32 s15, -1
	v_add_nc_u32_e32 v9, -1, v27
	s_wait_alu 0xfffd
	s_delay_alu instid0(VALU_DEP_1) | instskip(NEXT) | instid1(VALU_DEP_1)
	v_cndmask_b32_e32 v22, v11, v9, vcc_lo
	v_ashrrev_i32_e32 v23, 31, v22
	s_delay_alu instid0(VALU_DEP_1) | instskip(NEXT) | instid1(VALU_DEP_1)
	v_lshlrev_b64_e32 v[9:10], 4, v[22:23]
	v_add_co_u32 v9, vcc_lo, s8, v9
	s_wait_alu 0xfffd
	s_delay_alu instid0(VALU_DEP_2)
	v_add_co_ci_u32_e64 v10, null, s9, v10, vcc_lo
	global_load_b128 v[9:12], v[9:10], off
	s_wait_loadcnt 0x0
	v_cmp_neq_f64_e32 vcc_lo, 0, v[9:10]
	v_cmp_neq_f64_e64 s2, 0, v[11:12]
	s_or_b32 s2, vcc_lo, s2
	s_wait_alu 0xfffe
	s_and_saveexec_b32 s22, s2
	s_delay_alu instid0(SALU_CYCLE_1)
	s_xor_b32 s2, exec_lo, s22
	s_cbranch_execz .LBB45_11
; %bb.16:                               ;   in Loop: Header=BB45_12 Depth=1
	v_mul_f64_e32 v[28:29], v[11:12], v[11:12]
	v_add_nc_u32_e32 v19, 1, v19
	s_mov_b32 s15, exec_lo
	s_delay_alu instid0(VALU_DEP_2) | instskip(NEXT) | instid1(VALU_DEP_1)
	v_fma_f64 v[28:29], v[9:10], v[9:10], v[28:29]
	v_div_scale_f64 v[30:31], null, v[28:29], v[28:29], 1.0
	v_div_scale_f64 v[36:37], vcc_lo, 1.0, v[28:29], 1.0
	s_delay_alu instid0(VALU_DEP_2) | instskip(NEXT) | instid1(TRANS32_DEP_1)
	v_rcp_f64_e32 v[32:33], v[30:31]
	v_fma_f64 v[34:35], -v[30:31], v[32:33], 1.0
	s_delay_alu instid0(VALU_DEP_1) | instskip(NEXT) | instid1(VALU_DEP_1)
	v_fma_f64 v[32:33], v[32:33], v[34:35], v[32:33]
	v_fma_f64 v[34:35], -v[30:31], v[32:33], 1.0
	s_delay_alu instid0(VALU_DEP_1) | instskip(NEXT) | instid1(VALU_DEP_1)
	v_fma_f64 v[32:33], v[32:33], v[34:35], v[32:33]
	v_mul_f64_e32 v[34:35], v[36:37], v[32:33]
	s_delay_alu instid0(VALU_DEP_1) | instskip(SKIP_3) | instid1(VALU_DEP_3)
	v_fma_f64 v[30:31], -v[30:31], v[34:35], v[36:37]
	v_mul_f64_e32 v[36:37], v[7:8], v[11:12]
	v_mul_f64_e64 v[11:12], v[11:12], -v[5:6]
	s_wait_alu 0xfffd
	v_div_fmas_f64 v[30:31], v[30:31], v[32:33], v[34:35]
	s_delay_alu instid0(VALU_DEP_3) | instskip(NEXT) | instid1(VALU_DEP_3)
	v_fma_f64 v[5:6], v[5:6], v[9:10], v[36:37]
	v_fma_f64 v[7:8], v[7:8], v[9:10], v[11:12]
	v_add_nc_u32_e32 v9, v25, v22
	s_delay_alu instid0(VALU_DEP_4) | instskip(NEXT) | instid1(VALU_DEP_1)
	v_div_fixup_f64 v[28:29], v[30:31], v[28:29], 1.0
	v_mul_f64_e32 v[5:6], v[5:6], v[28:29]
	s_delay_alu instid0(VALU_DEP_4)
	v_mul_f64_e32 v[7:8], v[7:8], v[28:29]
	global_store_b128 v[20:21], v[5:8], off
	v_cmpx_lt_i32_e64 v9, v27
	s_cbranch_execz .LBB45_10
; %bb.17:                               ;   in Loop: Header=BB45_12 Depth=1
	v_mov_b32_e32 v11, v19
	s_mov_b32 s22, 0
	s_branch .LBB45_19
.LBB45_18:                              ;   in Loop: Header=BB45_19 Depth=2
	s_or_b32 exec_lo, exec_lo, s23
	v_add_nc_u32_e32 v9, 32, v9
	s_delay_alu instid0(VALU_DEP_1) | instskip(SKIP_1) | instid1(SALU_CYCLE_1)
	v_cmp_ge_i32_e32 vcc_lo, v9, v27
	s_or_b32 s22, vcc_lo, s22
	s_and_not1_b32 exec_lo, exec_lo, s22
	s_cbranch_execz .LBB45_10
.LBB45_19:                              ;   Parent Loop BB45_12 Depth=1
                                        ; =>  This Loop Header: Depth=2
                                        ;       Child Loop BB45_21 Depth 3
	s_delay_alu instid0(VALU_DEP_1) | instskip(SKIP_1) | instid1(VALU_DEP_1)
	v_add_nc_u32_e32 v10, v11, v26
	s_mov_b32 s23, exec_lo
	v_ashrrev_i32_e32 v20, 1, v10
	v_ashrrev_i32_e32 v10, 31, v9
	s_delay_alu instid0(VALU_DEP_2) | instskip(NEXT) | instid1(VALU_DEP_2)
	v_ashrrev_i32_e32 v21, 31, v20
	v_lshlrev_b64_e32 v[22:23], 2, v[9:10]
	s_delay_alu instid0(VALU_DEP_2) | instskip(NEXT) | instid1(VALU_DEP_2)
	v_lshlrev_b64_e32 v[28:29], 2, v[20:21]
	v_add_co_u32 v21, vcc_lo, s6, v22
	s_wait_alu 0xfffd
	s_delay_alu instid0(VALU_DEP_3) | instskip(NEXT) | instid1(VALU_DEP_3)
	v_add_co_ci_u32_e64 v22, null, s7, v23, vcc_lo
	v_add_co_u32 v28, vcc_lo, s6, v28
	s_wait_alu 0xfffd
	v_add_co_ci_u32_e64 v29, null, s7, v29, vcc_lo
	s_clause 0x1
	global_load_b32 v12, v[21:22], off
	global_load_b32 v21, v[28:29], off
	v_cmpx_lt_i32_e64 v11, v26
	s_cbranch_execz .LBB45_23
; %bb.20:                               ;   in Loop: Header=BB45_19 Depth=2
	v_mov_b32_e32 v22, v26
	s_mov_b32 s24, 0
.LBB45_21:                              ;   Parent Loop BB45_12 Depth=1
                                        ;     Parent Loop BB45_19 Depth=2
                                        ; =>    This Inner Loop Header: Depth=3
	s_wait_loadcnt 0x0
	v_cmp_lt_i32_e32 vcc_lo, v21, v12
	s_wait_alu 0xfffd
	v_dual_cndmask_b32 v22, v20, v22 :: v_dual_add_nc_u32 v23, 1, v20
	s_delay_alu instid0(VALU_DEP_1) | instskip(NEXT) | instid1(VALU_DEP_1)
	v_cndmask_b32_e32 v11, v11, v23, vcc_lo
	v_add_nc_u32_e32 v20, v22, v11
	s_delay_alu instid0(VALU_DEP_1) | instskip(NEXT) | instid1(VALU_DEP_1)
	v_ashrrev_i32_e32 v20, 1, v20
	v_ashrrev_i32_e32 v21, 31, v20
	s_delay_alu instid0(VALU_DEP_1) | instskip(NEXT) | instid1(VALU_DEP_1)
	v_lshlrev_b64_e32 v[28:29], 2, v[20:21]
	v_add_co_u32 v28, vcc_lo, s6, v28
	s_wait_alu 0xfffd
	s_delay_alu instid0(VALU_DEP_2)
	v_add_co_ci_u32_e64 v29, null, s7, v29, vcc_lo
	v_cmp_ge_i32_e32 vcc_lo, v11, v22
	global_load_b32 v21, v[28:29], off
	s_wait_alu 0xfffe
	s_or_b32 s24, vcc_lo, s24
	s_wait_alu 0xfffe
	s_and_not1_b32 exec_lo, exec_lo, s24
	s_cbranch_execnz .LBB45_21
; %bb.22:                               ;   in Loop: Header=BB45_19 Depth=2
	s_or_b32 exec_lo, exec_lo, s24
.LBB45_23:                              ;   in Loop: Header=BB45_19 Depth=2
	s_delay_alu instid0(SALU_CYCLE_1) | instskip(NEXT) | instid1(SALU_CYCLE_1)
	s_or_b32 exec_lo, exec_lo, s23
	s_mov_b32 s23, exec_lo
	s_wait_loadcnt 0x0
	v_cmpx_eq_u32_e64 v21, v12
	s_cbranch_execz .LBB45_18
; %bb.24:                               ;   in Loop: Header=BB45_19 Depth=2
	v_ashrrev_i32_e32 v12, 31, v11
	v_lshlrev_b64_e32 v[20:21], 4, v[9:10]
	s_delay_alu instid0(VALU_DEP_2) | instskip(NEXT) | instid1(VALU_DEP_2)
	v_lshlrev_b64_e32 v[22:23], 4, v[11:12]
	v_add_co_u32 v20, vcc_lo, s8, v20
	s_wait_alu 0xfffd
	s_delay_alu instid0(VALU_DEP_3) | instskip(NEXT) | instid1(VALU_DEP_3)
	v_add_co_ci_u32_e64 v21, null, s9, v21, vcc_lo
	v_add_co_u32 v32, vcc_lo, s8, v22
	s_wait_alu 0xfffd
	v_add_co_ci_u32_e64 v33, null, s9, v23, vcc_lo
	s_clause 0x1
	global_load_b128 v[20:23], v[20:21], off
	global_load_b128 v[28:31], v[32:33], off
	s_wait_loadcnt 0x0
	v_fma_f64 v[28:29], -v[5:6], v[20:21], v[28:29]
	v_fma_f64 v[30:31], -v[7:8], v[20:21], v[30:31]
	s_delay_alu instid0(VALU_DEP_2) | instskip(NEXT) | instid1(VALU_DEP_2)
	v_fma_f64 v[20:21], v[7:8], v[22:23], v[28:29]
	v_fma_f64 v[22:23], -v[5:6], v[22:23], v[30:31]
	global_store_b128 v[32:33], v[20:23], off
	s_branch .LBB45_18
.LBB45_25:
	s_wait_alu 0xfffe
	s_or_b32 exec_lo, exec_lo, s3
	s_delay_alu instid0(SALU_CYCLE_1)
	s_mov_b32 s3, exec_lo
	s_wait_storecnt_dscnt 0x0
	global_inv scope:SCOPE_SE
	v_cmpx_lt_i32_e32 -1, v18
	s_cbranch_execz .LBB45_47
; %bb.26:
	v_mov_b32_e32 v19, 0
	s_mov_b32 s2, exec_lo
	s_delay_alu instid0(VALU_DEP_1) | instskip(NEXT) | instid1(VALU_DEP_1)
	v_lshlrev_b64_e32 v[5:6], 4, v[18:19]
	v_add_co_u32 v9, vcc_lo, s8, v5
	s_wait_alu 0xfffd
	s_delay_alu instid0(VALU_DEP_2)
	v_add_co_ci_u32_e64 v10, null, s9, v6, vcc_lo
	global_load_b128 v[5:8], v[9:10], off
	s_wait_loadcnt 0x0
	v_cmp_gt_f64_e32 vcc_lo, 0, v[5:6]
	v_xor_b32_e32 v12, 0x80000000, v6
	v_xor_b32_e32 v18, 0x80000000, v8
	v_dual_mov_b32 v11, v5 :: v_dual_mov_b32 v20, v7
	s_wait_alu 0xfffd
	s_delay_alu instid0(VALU_DEP_3) | instskip(SKIP_3) | instid1(VALU_DEP_1)
	v_cndmask_b32_e32 v12, v6, v12, vcc_lo
	v_cmp_gt_f64_e32 vcc_lo, 0, v[7:8]
	s_wait_alu 0xfffd
	v_cndmask_b32_e32 v21, v8, v18, vcc_lo
                                        ; implicit-def: $vgpr18_vgpr19
	v_cmpx_ngt_f64_e32 v[11:12], v[20:21]
	s_wait_alu 0xfffe
	s_xor_b32 s2, exec_lo, s2
	s_cbranch_execz .LBB45_30
; %bb.27:
	v_mov_b32_e32 v18, 0
	v_mov_b32_e32 v19, 0
	s_mov_b32 s4, exec_lo
	v_cmpx_neq_f64_e32 0, v[7:8]
	s_cbranch_execz .LBB45_29
; %bb.28:
	v_div_scale_f64 v[18:19], null, v[20:21], v[20:21], v[11:12]
	v_div_scale_f64 v[27:28], vcc_lo, v[11:12], v[20:21], v[11:12]
	s_delay_alu instid0(VALU_DEP_2) | instskip(NEXT) | instid1(TRANS32_DEP_1)
	v_rcp_f64_e32 v[22:23], v[18:19]
	v_fma_f64 v[25:26], -v[18:19], v[22:23], 1.0
	s_delay_alu instid0(VALU_DEP_1) | instskip(NEXT) | instid1(VALU_DEP_1)
	v_fma_f64 v[22:23], v[22:23], v[25:26], v[22:23]
	v_fma_f64 v[25:26], -v[18:19], v[22:23], 1.0
	s_delay_alu instid0(VALU_DEP_1) | instskip(NEXT) | instid1(VALU_DEP_1)
	v_fma_f64 v[22:23], v[22:23], v[25:26], v[22:23]
	v_mul_f64_e32 v[25:26], v[27:28], v[22:23]
	s_delay_alu instid0(VALU_DEP_1) | instskip(SKIP_1) | instid1(VALU_DEP_1)
	v_fma_f64 v[18:19], -v[18:19], v[25:26], v[27:28]
	s_wait_alu 0xfffd
	v_div_fmas_f64 v[18:19], v[18:19], v[22:23], v[25:26]
	s_delay_alu instid0(VALU_DEP_1) | instskip(NEXT) | instid1(VALU_DEP_1)
	v_div_fixup_f64 v[11:12], v[18:19], v[20:21], v[11:12]
	v_fma_f64 v[11:12], v[11:12], v[11:12], 1.0
	s_delay_alu instid0(VALU_DEP_1) | instskip(SKIP_2) | instid1(VALU_DEP_1)
	v_cmp_gt_f64_e32 vcc_lo, 0x10000000, v[11:12]
	s_wait_alu 0xfffd
	v_cndmask_b32_e64 v18, 0, 0x100, vcc_lo
	v_ldexp_f64 v[11:12], v[11:12], v18
	s_delay_alu instid0(VALU_DEP_1) | instskip(NEXT) | instid1(TRANS32_DEP_1)
	v_rsq_f64_e32 v[18:19], v[11:12]
	v_mul_f64_e32 v[22:23], v[11:12], v[18:19]
	v_mul_f64_e32 v[18:19], 0.5, v[18:19]
	s_delay_alu instid0(VALU_DEP_1) | instskip(NEXT) | instid1(VALU_DEP_1)
	v_fma_f64 v[25:26], -v[18:19], v[22:23], 0.5
	v_fma_f64 v[22:23], v[22:23], v[25:26], v[22:23]
	v_fma_f64 v[18:19], v[18:19], v[25:26], v[18:19]
	s_delay_alu instid0(VALU_DEP_2) | instskip(NEXT) | instid1(VALU_DEP_1)
	v_fma_f64 v[25:26], -v[22:23], v[22:23], v[11:12]
	v_fma_f64 v[22:23], v[25:26], v[18:19], v[22:23]
	s_delay_alu instid0(VALU_DEP_1) | instskip(NEXT) | instid1(VALU_DEP_1)
	v_fma_f64 v[25:26], -v[22:23], v[22:23], v[11:12]
	v_fma_f64 v[18:19], v[25:26], v[18:19], v[22:23]
	v_cndmask_b32_e64 v22, 0, 0xffffff80, vcc_lo
	v_cmp_class_f64_e64 vcc_lo, v[11:12], 0x260
	s_delay_alu instid0(VALU_DEP_2) | instskip(SKIP_1) | instid1(VALU_DEP_1)
	v_ldexp_f64 v[18:19], v[18:19], v22
	s_wait_alu 0xfffd
	v_dual_cndmask_b32 v12, v19, v12 :: v_dual_cndmask_b32 v11, v18, v11
	s_delay_alu instid0(VALU_DEP_1)
	v_mul_f64_e32 v[18:19], v[20:21], v[11:12]
.LBB45_29:
	s_wait_alu 0xfffe
	s_or_b32 exec_lo, exec_lo, s4
                                        ; implicit-def: $vgpr11_vgpr12
                                        ; implicit-def: $vgpr20_vgpr21
.LBB45_30:
	s_wait_alu 0xfffe
	s_and_not1_saveexec_b32 s2, s2
	s_cbranch_execz .LBB45_32
; %bb.31:
	v_div_scale_f64 v[18:19], null, v[11:12], v[11:12], v[20:21]
	v_div_scale_f64 v[27:28], vcc_lo, v[20:21], v[11:12], v[20:21]
	s_delay_alu instid0(VALU_DEP_2) | instskip(NEXT) | instid1(TRANS32_DEP_1)
	v_rcp_f64_e32 v[22:23], v[18:19]
	v_fma_f64 v[25:26], -v[18:19], v[22:23], 1.0
	s_delay_alu instid0(VALU_DEP_1) | instskip(NEXT) | instid1(VALU_DEP_1)
	v_fma_f64 v[22:23], v[22:23], v[25:26], v[22:23]
	v_fma_f64 v[25:26], -v[18:19], v[22:23], 1.0
	s_delay_alu instid0(VALU_DEP_1) | instskip(NEXT) | instid1(VALU_DEP_1)
	v_fma_f64 v[22:23], v[22:23], v[25:26], v[22:23]
	v_mul_f64_e32 v[25:26], v[27:28], v[22:23]
	s_delay_alu instid0(VALU_DEP_1) | instskip(SKIP_1) | instid1(VALU_DEP_1)
	v_fma_f64 v[18:19], -v[18:19], v[25:26], v[27:28]
	s_wait_alu 0xfffd
	v_div_fmas_f64 v[18:19], v[18:19], v[22:23], v[25:26]
	s_delay_alu instid0(VALU_DEP_1) | instskip(NEXT) | instid1(VALU_DEP_1)
	v_div_fixup_f64 v[18:19], v[18:19], v[11:12], v[20:21]
	v_fma_f64 v[18:19], v[18:19], v[18:19], 1.0
	s_delay_alu instid0(VALU_DEP_1) | instskip(SKIP_2) | instid1(VALU_DEP_1)
	v_cmp_gt_f64_e32 vcc_lo, 0x10000000, v[18:19]
	s_wait_alu 0xfffd
	v_cndmask_b32_e64 v20, 0, 0x100, vcc_lo
	v_ldexp_f64 v[18:19], v[18:19], v20
	s_delay_alu instid0(VALU_DEP_1) | instskip(NEXT) | instid1(TRANS32_DEP_1)
	v_rsq_f64_e32 v[20:21], v[18:19]
	v_mul_f64_e32 v[22:23], v[18:19], v[20:21]
	v_mul_f64_e32 v[20:21], 0.5, v[20:21]
	s_delay_alu instid0(VALU_DEP_1) | instskip(NEXT) | instid1(VALU_DEP_1)
	v_fma_f64 v[25:26], -v[20:21], v[22:23], 0.5
	v_fma_f64 v[22:23], v[22:23], v[25:26], v[22:23]
	v_fma_f64 v[20:21], v[20:21], v[25:26], v[20:21]
	s_delay_alu instid0(VALU_DEP_2) | instskip(NEXT) | instid1(VALU_DEP_1)
	v_fma_f64 v[25:26], -v[22:23], v[22:23], v[18:19]
	v_fma_f64 v[22:23], v[25:26], v[20:21], v[22:23]
	s_delay_alu instid0(VALU_DEP_1) | instskip(NEXT) | instid1(VALU_DEP_1)
	v_fma_f64 v[25:26], -v[22:23], v[22:23], v[18:19]
	v_fma_f64 v[20:21], v[25:26], v[20:21], v[22:23]
	v_cndmask_b32_e64 v22, 0, 0xffffff80, vcc_lo
	v_cmp_class_f64_e64 vcc_lo, v[18:19], 0x260
	s_delay_alu instid0(VALU_DEP_2) | instskip(SKIP_1) | instid1(VALU_DEP_1)
	v_ldexp_f64 v[20:21], v[20:21], v22
	s_wait_alu 0xfffd
	v_dual_cndmask_b32 v19, v21, v19 :: v_dual_cndmask_b32 v18, v20, v18
	s_delay_alu instid0(VALU_DEP_1)
	v_mul_f64_e32 v[18:19], v[11:12], v[18:19]
.LBB45_32:
	s_wait_alu 0xfffe
	s_or_b32 exec_lo, exec_lo, s2
	v_cmp_ne_u32_e32 vcc_lo, 1, v24
	v_cmp_eq_u32_e64 s2, 0, v0
	s_mov_b32 s4, -1
	s_cbranch_vccnz .LBB45_36
; %bb.33:
	v_cvt_f64_f32_e32 v[11:12], s29
	s_cmp_eq_u64 s[20:21], 8
	s_cselect_b32 vcc_lo, -1, 0
	s_wait_alu 0xfffe
	s_delay_alu instid0(VALU_DEP_1) | instskip(NEXT) | instid1(VALU_DEP_1)
	v_dual_cndmask_b32 v12, v12, v16 :: v_dual_cndmask_b32 v11, v11, v15
	v_cmp_le_f64_e32 vcc_lo, v[18:19], v[11:12]
	s_and_b32 s5, s2, vcc_lo
	s_wait_alu 0xfffe
	s_and_saveexec_b32 s4, s5
	s_cbranch_execz .LBB45_35
; %bb.34:
	global_store_b128 v[9:10], v[1:4], off
.LBB45_35:
	s_wait_alu 0xfffe
	s_or_b32 exec_lo, exec_lo, s4
	s_mov_b32 s4, 0
.LBB45_36:
	s_wait_alu 0xfffe
	s_and_not1_b32 vcc_lo, exec_lo, s4
	s_wait_alu 0xfffe
	s_cbranch_vccnz .LBB45_47
; %bb.37:
	s_load_b64 s[0:1], s[0:1], 0x48
	v_add_nc_u32_e32 v1, s28, v17
	s_wait_kmcnt 0x0
	v_cmp_ge_f64_e32 vcc_lo, s[0:1], v[18:19]
	s_and_b32 s1, s2, vcc_lo
	s_wait_alu 0xfffe
	s_and_saveexec_b32 s0, s1
	s_cbranch_execz .LBB45_42
; %bb.38:
	s_mov_b32 s4, exec_lo
	s_brev_b32 s1, -2
.LBB45_39:                              ; =>This Inner Loop Header: Depth=1
	s_wait_alu 0xfffe
	s_ctz_i32_b32 s5, s4
	s_wait_alu 0xfffe
	v_readlane_b32 s6, v1, s5
	s_lshl_b32 s5, 1, s5
	s_wait_alu 0xfffe
	s_and_not1_b32 s4, s4, s5
	s_min_i32 s1, s1, s6
	s_wait_alu 0xfffe
	s_cmp_lg_u32 s4, 0
	s_cbranch_scc1 .LBB45_39
; %bb.40:
	v_mbcnt_lo_u32_b32 v2, exec_lo, 0
	s_mov_b32 s4, exec_lo
	s_delay_alu instid0(VALU_DEP_1)
	v_cmpx_eq_u32_e32 0, v2
	s_wait_alu 0xfffe
	s_xor_b32 s4, exec_lo, s4
	s_cbranch_execz .LBB45_42
; %bb.41:
	v_dual_mov_b32 v2, 0 :: v_dual_mov_b32 v3, s1
	global_atomic_min_i32 v2, v3, s[18:19] scope:SCOPE_DEV
.LBB45_42:
	s_wait_alu 0xfffe
	s_or_b32 exec_lo, exec_lo, s0
	v_cmp_eq_f64_e32 vcc_lo, 0, v[5:6]
	v_cmp_eq_f64_e64 s0, 0, v[7:8]
	s_and_b32 s0, vcc_lo, s0
	s_wait_alu 0xfffe
	s_and_b32 s0, s2, s0
	s_wait_alu 0xfffe
	s_and_b32 exec_lo, exec_lo, s0
	s_cbranch_execz .LBB45_47
; %bb.43:
	s_mov_b32 s1, exec_lo
	s_brev_b32 s0, -2
.LBB45_44:                              ; =>This Inner Loop Header: Depth=1
	s_wait_alu 0xfffe
	s_ctz_i32_b32 s2, s1
	s_wait_alu 0xfffe
	v_readlane_b32 s4, v1, s2
	s_lshl_b32 s2, 1, s2
	s_wait_alu 0xfffe
	s_and_not1_b32 s1, s1, s2
	s_min_i32 s0, s0, s4
	s_wait_alu 0xfffe
	s_cmp_lg_u32 s1, 0
	s_cbranch_scc1 .LBB45_44
; %bb.45:
	v_mbcnt_lo_u32_b32 v1, exec_lo, 0
	s_mov_b32 s1, exec_lo
	s_delay_alu instid0(VALU_DEP_1)
	v_cmpx_eq_u32_e32 0, v1
	s_wait_alu 0xfffe
	s_xor_b32 s1, exec_lo, s1
	s_cbranch_execz .LBB45_47
; %bb.46:
	v_dual_mov_b32 v1, 0 :: v_dual_mov_b32 v2, s0
	global_atomic_min_i32 v1, v2, s[16:17] scope:SCOPE_DEV
.LBB45_47:
	s_wait_alu 0xfffe
	s_or_b32 exec_lo, exec_lo, s3
	v_cmp_eq_u32_e32 vcc_lo, 0, v0
	s_wait_loadcnt 0x0
	s_wait_storecnt 0x0
	global_inv scope:SCOPE_DEV
	s_and_b32 exec_lo, exec_lo, vcc_lo
	s_cbranch_execz .LBB45_49
; %bb.48:
	v_add_co_u32 v0, vcc_lo, s12, v13
	s_wait_alu 0xfffd
	v_add_co_ci_u32_e64 v1, null, s13, v14, vcc_lo
	v_mov_b32_e32 v2, 1
	s_wait_loadcnt 0x0
	global_store_b32 v[0:1], v2, off scope:SCOPE_DEV
.LBB45_49:
	s_endpgm
	.section	.rodata,"a",@progbits
	.p2align	6, 0x0
	.amdhsa_kernel _ZN9rocsparseL17csrilu0_binsearchILj256ELj32ELb0E21rocsparse_complex_numIdEEEviPKiS4_PT2_S4_PiS4_S7_S7_d21rocsparse_index_base_imNS_24const_host_device_scalarIfEENS9_IdEENS9_IS5_EEb
		.amdhsa_group_segment_fixed_size 0
		.amdhsa_private_segment_fixed_size 16
		.amdhsa_kernarg_size 132
		.amdhsa_user_sgpr_count 2
		.amdhsa_user_sgpr_dispatch_ptr 0
		.amdhsa_user_sgpr_queue_ptr 0
		.amdhsa_user_sgpr_kernarg_segment_ptr 1
		.amdhsa_user_sgpr_dispatch_id 0
		.amdhsa_user_sgpr_private_segment_size 0
		.amdhsa_wavefront_size32 1
		.amdhsa_uses_dynamic_stack 0
		.amdhsa_enable_private_segment 1
		.amdhsa_system_sgpr_workgroup_id_x 1
		.amdhsa_system_sgpr_workgroup_id_y 0
		.amdhsa_system_sgpr_workgroup_id_z 0
		.amdhsa_system_sgpr_workgroup_info 0
		.amdhsa_system_vgpr_workitem_id 0
		.amdhsa_next_free_vgpr 38
		.amdhsa_next_free_sgpr 30
		.amdhsa_reserve_vcc 1
		.amdhsa_float_round_mode_32 0
		.amdhsa_float_round_mode_16_64 0
		.amdhsa_float_denorm_mode_32 3
		.amdhsa_float_denorm_mode_16_64 3
		.amdhsa_fp16_overflow 0
		.amdhsa_workgroup_processor_mode 1
		.amdhsa_memory_ordered 1
		.amdhsa_forward_progress 1
		.amdhsa_inst_pref_size 23
		.amdhsa_round_robin_scheduling 0
		.amdhsa_exception_fp_ieee_invalid_op 0
		.amdhsa_exception_fp_denorm_src 0
		.amdhsa_exception_fp_ieee_div_zero 0
		.amdhsa_exception_fp_ieee_overflow 0
		.amdhsa_exception_fp_ieee_underflow 0
		.amdhsa_exception_fp_ieee_inexact 0
		.amdhsa_exception_int_div_zero 0
	.end_amdhsa_kernel
	.section	.text._ZN9rocsparseL17csrilu0_binsearchILj256ELj32ELb0E21rocsparse_complex_numIdEEEviPKiS4_PT2_S4_PiS4_S7_S7_d21rocsparse_index_base_imNS_24const_host_device_scalarIfEENS9_IdEENS9_IS5_EEb,"axG",@progbits,_ZN9rocsparseL17csrilu0_binsearchILj256ELj32ELb0E21rocsparse_complex_numIdEEEviPKiS4_PT2_S4_PiS4_S7_S7_d21rocsparse_index_base_imNS_24const_host_device_scalarIfEENS9_IdEENS9_IS5_EEb,comdat
.Lfunc_end45:
	.size	_ZN9rocsparseL17csrilu0_binsearchILj256ELj32ELb0E21rocsparse_complex_numIdEEEviPKiS4_PT2_S4_PiS4_S7_S7_d21rocsparse_index_base_imNS_24const_host_device_scalarIfEENS9_IdEENS9_IS5_EEb, .Lfunc_end45-_ZN9rocsparseL17csrilu0_binsearchILj256ELj32ELb0E21rocsparse_complex_numIdEEEviPKiS4_PT2_S4_PiS4_S7_S7_d21rocsparse_index_base_imNS_24const_host_device_scalarIfEENS9_IdEENS9_IS5_EEb
                                        ; -- End function
	.set _ZN9rocsparseL17csrilu0_binsearchILj256ELj32ELb0E21rocsparse_complex_numIdEEEviPKiS4_PT2_S4_PiS4_S7_S7_d21rocsparse_index_base_imNS_24const_host_device_scalarIfEENS9_IdEENS9_IS5_EEb.num_vgpr, 38
	.set _ZN9rocsparseL17csrilu0_binsearchILj256ELj32ELb0E21rocsparse_complex_numIdEEEviPKiS4_PT2_S4_PiS4_S7_S7_d21rocsparse_index_base_imNS_24const_host_device_scalarIfEENS9_IdEENS9_IS5_EEb.num_agpr, 0
	.set _ZN9rocsparseL17csrilu0_binsearchILj256ELj32ELb0E21rocsparse_complex_numIdEEEviPKiS4_PT2_S4_PiS4_S7_S7_d21rocsparse_index_base_imNS_24const_host_device_scalarIfEENS9_IdEENS9_IS5_EEb.numbered_sgpr, 30
	.set _ZN9rocsparseL17csrilu0_binsearchILj256ELj32ELb0E21rocsparse_complex_numIdEEEviPKiS4_PT2_S4_PiS4_S7_S7_d21rocsparse_index_base_imNS_24const_host_device_scalarIfEENS9_IdEENS9_IS5_EEb.num_named_barrier, 0
	.set _ZN9rocsparseL17csrilu0_binsearchILj256ELj32ELb0E21rocsparse_complex_numIdEEEviPKiS4_PT2_S4_PiS4_S7_S7_d21rocsparse_index_base_imNS_24const_host_device_scalarIfEENS9_IdEENS9_IS5_EEb.private_seg_size, 16
	.set _ZN9rocsparseL17csrilu0_binsearchILj256ELj32ELb0E21rocsparse_complex_numIdEEEviPKiS4_PT2_S4_PiS4_S7_S7_d21rocsparse_index_base_imNS_24const_host_device_scalarIfEENS9_IdEENS9_IS5_EEb.uses_vcc, 1
	.set _ZN9rocsparseL17csrilu0_binsearchILj256ELj32ELb0E21rocsparse_complex_numIdEEEviPKiS4_PT2_S4_PiS4_S7_S7_d21rocsparse_index_base_imNS_24const_host_device_scalarIfEENS9_IdEENS9_IS5_EEb.uses_flat_scratch, 0
	.set _ZN9rocsparseL17csrilu0_binsearchILj256ELj32ELb0E21rocsparse_complex_numIdEEEviPKiS4_PT2_S4_PiS4_S7_S7_d21rocsparse_index_base_imNS_24const_host_device_scalarIfEENS9_IdEENS9_IS5_EEb.has_dyn_sized_stack, 0
	.set _ZN9rocsparseL17csrilu0_binsearchILj256ELj32ELb0E21rocsparse_complex_numIdEEEviPKiS4_PT2_S4_PiS4_S7_S7_d21rocsparse_index_base_imNS_24const_host_device_scalarIfEENS9_IdEENS9_IS5_EEb.has_recursion, 0
	.set _ZN9rocsparseL17csrilu0_binsearchILj256ELj32ELb0E21rocsparse_complex_numIdEEEviPKiS4_PT2_S4_PiS4_S7_S7_d21rocsparse_index_base_imNS_24const_host_device_scalarIfEENS9_IdEENS9_IS5_EEb.has_indirect_call, 0
	.section	.AMDGPU.csdata,"",@progbits
; Kernel info:
; codeLenInByte = 2888
; TotalNumSgprs: 32
; NumVgprs: 38
; ScratchSize: 16
; MemoryBound: 0
; FloatMode: 240
; IeeeMode: 1
; LDSByteSize: 0 bytes/workgroup (compile time only)
; SGPRBlocks: 0
; VGPRBlocks: 4
; NumSGPRsForWavesPerEU: 32
; NumVGPRsForWavesPerEU: 38
; Occupancy: 16
; WaveLimiterHint : 1
; COMPUTE_PGM_RSRC2:SCRATCH_EN: 1
; COMPUTE_PGM_RSRC2:USER_SGPR: 2
; COMPUTE_PGM_RSRC2:TRAP_HANDLER: 0
; COMPUTE_PGM_RSRC2:TGID_X_EN: 1
; COMPUTE_PGM_RSRC2:TGID_Y_EN: 0
; COMPUTE_PGM_RSRC2:TGID_Z_EN: 0
; COMPUTE_PGM_RSRC2:TIDIG_COMP_CNT: 0
	.section	.text._ZN9rocsparseL12csrilu0_hashILj256ELj64ELj1E21rocsparse_complex_numIdEEEviPKiS4_PT2_S4_PiS4_S7_S7_d21rocsparse_index_base_imNS_24const_host_device_scalarIfEENS9_IdEENS9_IS5_EEb,"axG",@progbits,_ZN9rocsparseL12csrilu0_hashILj256ELj64ELj1E21rocsparse_complex_numIdEEEviPKiS4_PT2_S4_PiS4_S7_S7_d21rocsparse_index_base_imNS_24const_host_device_scalarIfEENS9_IdEENS9_IS5_EEb,comdat
	.globl	_ZN9rocsparseL12csrilu0_hashILj256ELj64ELj1E21rocsparse_complex_numIdEEEviPKiS4_PT2_S4_PiS4_S7_S7_d21rocsparse_index_base_imNS_24const_host_device_scalarIfEENS9_IdEENS9_IS5_EEb ; -- Begin function _ZN9rocsparseL12csrilu0_hashILj256ELj64ELj1E21rocsparse_complex_numIdEEEviPKiS4_PT2_S4_PiS4_S7_S7_d21rocsparse_index_base_imNS_24const_host_device_scalarIfEENS9_IdEENS9_IS5_EEb
	.p2align	8
	.type	_ZN9rocsparseL12csrilu0_hashILj256ELj64ELj1E21rocsparse_complex_numIdEEEviPKiS4_PT2_S4_PiS4_S7_S7_d21rocsparse_index_base_imNS_24const_host_device_scalarIfEENS9_IdEENS9_IS5_EEb,@function
_ZN9rocsparseL12csrilu0_hashILj256ELj64ELj1E21rocsparse_complex_numIdEEEviPKiS4_PT2_S4_PiS4_S7_S7_d21rocsparse_index_base_imNS_24const_host_device_scalarIfEENS9_IdEENS9_IS5_EEb: ; @_ZN9rocsparseL12csrilu0_hashILj256ELj64ELj1E21rocsparse_complex_numIdEEEviPKiS4_PT2_S4_PiS4_S7_S7_d21rocsparse_index_base_imNS_24const_host_device_scalarIfEENS9_IdEENS9_IS5_EEb
; %bb.0:
	s_clause 0x2
	s_load_b96 s[4:6], s[0:1], 0x78
	s_load_b64 s[28:29], s[0:1], 0x50
	s_load_b256 s[20:27], s[0:1], 0x58
	s_wait_kmcnt 0x0
	s_bitcmp1_b32 s6, 0
	s_cselect_b32 s6, -1, 0
	s_cmp_eq_u32 s29, 0
	v_dual_mov_b32 v1, s26 :: v_dual_mov_b32 v2, s27
	s_cselect_b32 s2, -1, 0
	s_cmp_lg_u32 s29, 0
	s_cselect_b32 s7, -1, 0
	s_or_b32 s9, s2, s6
	scratch_store_b64 off, v[1:2], off
	s_xor_b32 s8, s9, -1
	s_and_b32 s2, s2, exec_lo
	s_cselect_b32 s3, 0, s25
	s_cselect_b32 s2, 0, s24
	;; [unrolled: 1-line block ×3, first 2 shown]
	s_and_b32 vcc_lo, exec_lo, s9
	s_cbranch_vccnz .LBB46_2
; %bb.1:
	s_load_b32 s29, s[22:23], 0x0
	s_mov_b64 s[2:3], s[24:25]
.LBB46_2:
	s_delay_alu instid0(SALU_CYCLE_1)
	v_dual_mov_b32 v16, s3 :: v_dual_mov_b32 v15, s2
	s_and_not1_b32 vcc_lo, exec_lo, s8
	s_cbranch_vccnz .LBB46_4
; %bb.3:
	v_dual_mov_b32 v1, s24 :: v_dual_mov_b32 v2, s25
	flat_load_b64 v[15:16], v[1:2]
.LBB46_4:
	v_mov_b32_e32 v3, 0
	v_dual_mov_b32 v4, 0 :: v_dual_mov_b32 v1, 0
	v_cndmask_b32_e64 v24, 0, 1, s7
	v_mov_b32_e32 v2, 0
	s_and_not1_b32 vcc_lo, exec_lo, s7
	s_cbranch_vccnz .LBB46_7
; %bb.5:
	s_mov_b64 s[2:3], src_private_base
	s_xor_b32 s2, s6, -1
	s_and_b32 s6, s6, exec_lo
	s_cselect_b32 s6, 0, s26
	s_wait_alu 0xfffe
	s_cselect_b32 s3, s3, s27
	s_wait_alu 0xfffe
	v_dual_mov_b32 v1, s6 :: v_dual_mov_b32 v2, s3
	v_dual_mov_b32 v3, s4 :: v_dual_mov_b32 v4, s5
	s_and_not1_b32 vcc_lo, exec_lo, s2
	flat_load_b64 v[1:2], v[1:2]
	s_cbranch_vccnz .LBB46_7
; %bb.6:
	v_dual_mov_b32 v3, s26 :: v_dual_mov_b32 v4, s27
	flat_load_b64 v[3:4], v[3:4] offset:8
.LBB46_7:
	s_load_b32 s2, s[0:1], 0x0
	v_and_b32_e32 v6, 0xc0, v0
	v_lshrrev_b32_e32 v5, 6, v0
	s_lshl_b32 s3, ttmp9, 2
	v_and_b32_e32 v0, 63, v0
	v_mov_b32_e32 v8, -1
	v_lshl_or_b32 v25, v6, 2, 0x400
	s_wait_alu 0xfffe
	v_and_or_b32 v5, 0x3fffffc, s3, v5
	s_delay_alu instid0(VALU_DEP_2)
	v_lshl_or_b32 v7, v0, 2, v25
	ds_store_b32 v7, v8
	s_wait_storecnt 0x0
	s_wait_loadcnt_dscnt 0x0
	global_inv scope:SCOPE_SE
	s_wait_kmcnt 0x0
	v_cmp_gt_i32_e32 vcc_lo, s2, v5
	s_and_saveexec_b32 s2, vcc_lo
	s_cbranch_execz .LBB46_85
; %bb.8:
	s_load_b512 s[4:19], s[0:1], 0x8
	v_lshlrev_b32_e32 v5, 2, v5
	v_lshlrev_b32_e32 v26, 2, v6
	s_mov_b32 s2, exec_lo
	s_wait_kmcnt 0x0
	global_load_b32 v17, v5, s[14:15]
	s_wait_loadcnt 0x0
	v_ashrrev_i32_e32 v18, 31, v17
	s_delay_alu instid0(VALU_DEP_1) | instskip(NEXT) | instid1(VALU_DEP_1)
	v_lshlrev_b64_e32 v[13:14], 2, v[17:18]
	v_add_co_u32 v7, vcc_lo, s4, v13
	s_delay_alu instid0(VALU_DEP_1)
	v_add_co_ci_u32_e64 v8, null, s5, v14, vcc_lo
	v_add_co_u32 v9, vcc_lo, s10, v13
	s_wait_alu 0xfffd
	v_add_co_ci_u32_e64 v10, null, s11, v14, vcc_lo
	global_load_b64 v[7:8], v[7:8], off
	global_load_b32 v18, v[9:10], off
	s_wait_loadcnt 0x1
	v_subrev_nc_u32_e32 v19, s28, v7
	v_subrev_nc_u32_e32 v7, s28, v8
	s_delay_alu instid0(VALU_DEP_2) | instskip(NEXT) | instid1(VALU_DEP_1)
	v_add_nc_u32_e32 v5, v19, v0
	v_cmpx_lt_i32_e64 v5, v7
	s_cbranch_execz .LBB46_31
; %bb.9:
	v_mov_b32_e32 v8, -1
	s_mov_b32 s3, 0
	s_branch .LBB46_11
.LBB46_10:                              ;   in Loop: Header=BB46_11 Depth=1
	s_or_b32 exec_lo, exec_lo, s14
	v_add_nc_u32_e32 v5, 64, v5
	s_delay_alu instid0(VALU_DEP_1)
	v_cmp_ge_i32_e32 vcc_lo, v5, v7
	s_or_b32 s3, vcc_lo, s3
	s_wait_alu 0xfffe
	s_and_not1_b32 exec_lo, exec_lo, s3
	s_cbranch_execz .LBB46_31
.LBB46_11:                              ; =>This Loop Header: Depth=1
                                        ;     Child Loop BB46_20 Depth 2
	v_ashrrev_i32_e32 v6, 31, v5
	s_mov_b32 s14, 0
                                        ; implicit-def: $sgpr15
                                        ; implicit-def: $sgpr22
                                        ; implicit-def: $sgpr23
	s_delay_alu instid0(VALU_DEP_1) | instskip(NEXT) | instid1(VALU_DEP_1)
	v_lshlrev_b64_e32 v[9:10], 2, v[5:6]
	v_add_co_u32 v9, vcc_lo, s6, v9
	s_wait_alu 0xfffd
	s_delay_alu instid0(VALU_DEP_2)
	v_add_co_ci_u32_e64 v10, null, s7, v10, vcc_lo
	global_load_b32 v6, v[9:10], off
	v_mov_b32_e32 v9, 64
	s_wait_loadcnt 0x0
	v_mul_lo_u32 v11, v6, 39
	s_branch .LBB46_20
.LBB46_12:                              ;   in Loop: Header=BB46_20 Depth=2
	s_or_b32 exec_lo, exec_lo, s36
	s_delay_alu instid0(SALU_CYCLE_1)
	s_or_not1_b32 s34, s34, exec_lo
	s_or_not1_b32 s35, s35, exec_lo
.LBB46_13:                              ;   in Loop: Header=BB46_20 Depth=2
	s_or_b32 exec_lo, exec_lo, s33
	s_delay_alu instid0(SALU_CYCLE_1)
	s_and_b32 s34, s34, exec_lo
	s_or_not1_b32 s33, s35, exec_lo
.LBB46_14:                              ;   in Loop: Header=BB46_20 Depth=2
	s_or_b32 exec_lo, exec_lo, s31
	s_delay_alu instid0(SALU_CYCLE_1)
	s_or_not1_b32 s31, s34, exec_lo
	s_or_not1_b32 s33, s33, exec_lo
.LBB46_15:                              ;   in Loop: Header=BB46_20 Depth=2
	s_or_b32 exec_lo, exec_lo, s30
	s_delay_alu instid0(SALU_CYCLE_1)
	s_and_b32 s31, s31, exec_lo
	s_or_not1_b32 s30, s33, exec_lo
.LBB46_16:                              ;   in Loop: Header=BB46_20 Depth=2
	s_wait_alu 0xfffe
	s_or_b32 exec_lo, exec_lo, s27
	s_delay_alu instid0(SALU_CYCLE_1)
	s_or_not1_b32 s27, s31, exec_lo
	s_or_not1_b32 s30, s30, exec_lo
.LBB46_17:                              ;   in Loop: Header=BB46_20 Depth=2
	s_wait_alu 0xfffe
	s_or_b32 exec_lo, exec_lo, s26
	s_delay_alu instid0(SALU_CYCLE_1)
	s_and_b32 s27, s27, exec_lo
	s_or_not1_b32 s26, s30, exec_lo
.LBB46_18:                              ;   in Loop: Header=BB46_20 Depth=2
	s_wait_alu 0xfffe
	s_or_b32 exec_lo, exec_lo, s25
	s_delay_alu instid0(SALU_CYCLE_1)
	s_and_not1_b32 s23, s23, exec_lo
	s_and_b32 s25, s27, exec_lo
	s_and_not1_b32 s22, s22, exec_lo
	s_and_b32 s26, s26, exec_lo
	s_wait_alu 0xfffe
	s_or_b32 s23, s23, s25
	s_or_b32 s22, s22, s26
.LBB46_19:                              ;   in Loop: Header=BB46_20 Depth=2
	s_wait_alu 0xfffe
	s_or_b32 exec_lo, exec_lo, s24
	s_delay_alu instid0(SALU_CYCLE_1)
	s_and_b32 s24, exec_lo, s22
	s_wait_alu 0xfffe
	s_or_b32 s14, s24, s14
	s_and_not1_b32 s15, s15, exec_lo
	s_and_b32 s24, s23, exec_lo
	s_wait_alu 0xfffe
	s_or_b32 s15, s15, s24
	s_and_not1_b32 exec_lo, exec_lo, s14
	s_cbranch_execz .LBB46_29
.LBB46_20:                              ;   Parent Loop BB46_11 Depth=1
                                        ; =>  This Inner Loop Header: Depth=2
	s_delay_alu instid0(VALU_DEP_1) | instskip(SKIP_3) | instid1(VALU_DEP_1)
	v_and_b32_e32 v10, 63, v11
	s_or_b32 s23, s23, exec_lo
	s_or_b32 s22, s22, exec_lo
	s_mov_b32 s24, exec_lo
	v_lshl_add_u32 v12, v10, 2, v25
	ds_load_b32 v20, v12
	s_wait_dscnt 0x0
	v_cmpx_ne_u32_e64 v20, v6
	s_cbranch_execz .LBB46_19
; %bb.21:                               ;   in Loop: Header=BB46_20 Depth=2
	ds_cmpstore_rtn_b32 v12, v12, v6, v8
	s_mov_b32 s26, -1
	s_mov_b32 s27, 0
	s_mov_b32 s25, exec_lo
	s_wait_dscnt 0x0
	v_cmpx_ne_u32_e32 -1, v12
	s_cbranch_execz .LBB46_18
; %bb.22:                               ;   in Loop: Header=BB46_20 Depth=2
	v_add_nc_u32_e32 v10, 1, v11
	s_mov_b32 s30, -1
	s_mov_b32 s27, -1
	s_mov_b32 s26, exec_lo
	s_delay_alu instid0(VALU_DEP_1) | instskip(NEXT) | instid1(VALU_DEP_1)
	v_and_b32_e32 v10, 63, v10
	v_lshl_add_u32 v12, v10, 2, v25
	ds_load_b32 v20, v12
	s_wait_dscnt 0x0
	v_cmpx_ne_u32_e64 v20, v6
	s_cbranch_execz .LBB46_17
; %bb.23:                               ;   in Loop: Header=BB46_20 Depth=2
	ds_cmpstore_rtn_b32 v12, v12, v6, v8
	s_mov_b32 s31, 0
	s_mov_b32 s27, exec_lo
	s_wait_dscnt 0x0
	v_cmpx_ne_u32_e32 -1, v12
	s_cbranch_execz .LBB46_16
; %bb.24:                               ;   in Loop: Header=BB46_20 Depth=2
	v_add_nc_u32_e32 v10, 2, v11
	s_mov_b32 s33, -1
	s_mov_b32 s31, -1
	s_mov_b32 s30, exec_lo
	s_delay_alu instid0(VALU_DEP_1) | instskip(NEXT) | instid1(VALU_DEP_1)
	v_and_b32_e32 v10, 63, v10
	v_lshl_add_u32 v12, v10, 2, v25
	ds_load_b32 v20, v12
	s_wait_dscnt 0x0
	v_cmpx_ne_u32_e64 v20, v6
	s_cbranch_execz .LBB46_15
; %bb.25:                               ;   in Loop: Header=BB46_20 Depth=2
	ds_cmpstore_rtn_b32 v12, v12, v6, v8
	s_mov_b32 s34, 0
	s_mov_b32 s31, exec_lo
	s_wait_dscnt 0x0
	v_cmpx_ne_u32_e32 -1, v12
	s_cbranch_execz .LBB46_14
; %bb.26:                               ;   in Loop: Header=BB46_20 Depth=2
	v_add_nc_u32_e32 v10, 3, v11
	s_mov_b32 s35, -1
	s_mov_b32 s34, -1
	s_delay_alu instid0(VALU_DEP_1) | instskip(NEXT) | instid1(VALU_DEP_1)
	v_and_b32_e32 v10, 63, v10
	v_lshl_add_u32 v12, v10, 2, v25
	ds_load_b32 v11, v12
	s_wait_dscnt 0x0
	v_cmp_ne_u32_e32 vcc_lo, v11, v6
                                        ; implicit-def: $vgpr11
	s_and_saveexec_b32 s33, vcc_lo
	s_cbranch_execz .LBB46_13
; %bb.27:                               ;   in Loop: Header=BB46_20 Depth=2
	ds_cmpstore_rtn_b32 v11, v12, v6, v8
	s_mov_b32 s34, 0
	s_wait_dscnt 0x0
	v_cmp_ne_u32_e32 vcc_lo, -1, v11
                                        ; implicit-def: $vgpr11
	s_and_saveexec_b32 s36, vcc_lo
	s_cbranch_execz .LBB46_12
; %bb.28:                               ;   in Loop: Header=BB46_20 Depth=2
	v_add_nc_u32_e32 v9, -4, v9
	v_add_nc_u32_e32 v11, 1, v10
	s_mov_b32 s34, exec_lo
	s_delay_alu instid0(VALU_DEP_2)
	v_cmp_eq_u32_e32 vcc_lo, 0, v9
	s_or_not1_b32 s35, vcc_lo, exec_lo
	s_branch .LBB46_12
.LBB46_29:                              ;   in Loop: Header=BB46_11 Depth=1
	s_or_b32 exec_lo, exec_lo, s14
	s_xor_b32 s14, s15, -1
	s_delay_alu instid0(SALU_CYCLE_1) | instskip(NEXT) | instid1(SALU_CYCLE_1)
	s_and_saveexec_b32 s15, s14
	s_xor_b32 s14, exec_lo, s15
	s_cbranch_execz .LBB46_10
; %bb.30:                               ;   in Loop: Header=BB46_11 Depth=1
	v_lshl_add_u32 v6, v10, 2, v26
	ds_store_b32 v6, v5
	s_branch .LBB46_10
.LBB46_31:
	s_wait_alu 0xfffe
	s_or_b32 exec_lo, exec_lo, s2
	s_delay_alu instid0(SALU_CYCLE_1)
	s_mov_b32 s3, exec_lo
	s_wait_loadcnt_dscnt 0x0
	global_inv scope:SCOPE_SE
	v_cmpx_lt_i32_e64 v19, v18
	s_cbranch_execz .LBB46_61
; %bb.32:
	v_add_nc_u32_e32 v27, 1, v0
	s_mov_b32 s14, 0
	s_branch .LBB46_35
.LBB46_33:                              ;   in Loop: Header=BB46_35 Depth=1
	s_or_b32 exec_lo, exec_lo, s15
	v_add_nc_u32_e32 v19, 1, v19
	s_delay_alu instid0(VALU_DEP_1)
	v_cmp_ge_i32_e32 vcc_lo, v19, v18
	s_or_not1_b32 s15, vcc_lo, exec_lo
.LBB46_34:                              ;   in Loop: Header=BB46_35 Depth=1
	s_wait_alu 0xfffe
	s_or_b32 exec_lo, exec_lo, s2
	s_delay_alu instid0(SALU_CYCLE_1) | instskip(SKIP_2) | instid1(SALU_CYCLE_1)
	s_and_b32 s2, exec_lo, s15
	s_wait_alu 0xfffe
	s_or_b32 s14, s2, s14
	s_and_not1_b32 exec_lo, exec_lo, s14
	s_cbranch_execz .LBB46_61
.LBB46_35:                              ; =>This Loop Header: Depth=1
                                        ;     Child Loop BB46_36 Depth 2
                                        ;     Child Loop BB46_41 Depth 2
                                        ;       Child Loop BB46_50 Depth 3
	v_ashrrev_i32_e32 v20, 31, v19
	s_mov_b32 s2, 0
	s_delay_alu instid0(VALU_DEP_1) | instskip(SKIP_1) | instid1(VALU_DEP_2)
	v_lshlrev_b64_e32 v[5:6], 2, v[19:20]
	v_lshlrev_b64_e32 v[7:8], 4, v[19:20]
	v_add_co_u32 v5, vcc_lo, s6, v5
	s_wait_alu 0xfffd
	s_delay_alu instid0(VALU_DEP_3) | instskip(NEXT) | instid1(VALU_DEP_3)
	v_add_co_ci_u32_e64 v6, null, s7, v6, vcc_lo
	v_add_co_u32 v20, vcc_lo, s8, v7
	s_wait_alu 0xfffd
	v_add_co_ci_u32_e64 v21, null, s9, v8, vcc_lo
	global_load_b32 v5, v[5:6], off
	s_wait_loadcnt 0x0
	v_subrev_nc_u32_e32 v5, s28, v5
	s_delay_alu instid0(VALU_DEP_1) | instskip(NEXT) | instid1(VALU_DEP_1)
	v_ashrrev_i32_e32 v6, 31, v5
	v_lshlrev_b64_e32 v[9:10], 2, v[5:6]
	s_delay_alu instid0(VALU_DEP_1) | instskip(SKIP_1) | instid1(VALU_DEP_2)
	v_add_co_u32 v11, vcc_lo, s4, v9
	s_wait_alu 0xfffd
	v_add_co_ci_u32_e64 v12, null, s5, v10, vcc_lo
	v_add_co_u32 v22, vcc_lo, s10, v9
	s_wait_alu 0xfffd
	v_add_co_ci_u32_e64 v23, null, s11, v10, vcc_lo
	global_load_b128 v[5:8], v[20:21], off
	global_load_b32 v11, v[11:12], off offset:4
	global_load_b32 v12, v[22:23], off
	v_add_co_u32 v9, vcc_lo, s12, v9
	s_wait_alu 0xfffd
	v_add_co_ci_u32_e64 v10, null, s13, v10, vcc_lo
.LBB46_36:                              ;   Parent Loop BB46_35 Depth=1
                                        ; =>  This Inner Loop Header: Depth=2
	global_load_b32 v22, v[9:10], off scope:SCOPE_DEV
	s_wait_loadcnt 0x0
	v_cmp_ne_u32_e32 vcc_lo, 0, v22
	s_wait_alu 0xfffe
	s_or_b32 s2, vcc_lo, s2
	s_wait_alu 0xfffe
	s_and_not1_b32 exec_lo, exec_lo, s2
	s_cbranch_execnz .LBB46_36
; %bb.37:                               ;   in Loop: Header=BB46_35 Depth=1
	s_or_b32 exec_lo, exec_lo, s2
	v_subrev_nc_u32_e32 v28, s28, v11
	v_cmp_eq_u32_e32 vcc_lo, -1, v12
	global_inv scope:SCOPE_DEV
	s_mov_b32 s15, -1
	v_add_nc_u32_e32 v9, -1, v28
	s_wait_alu 0xfffd
	s_delay_alu instid0(VALU_DEP_1) | instskip(NEXT) | instid1(VALU_DEP_1)
	v_cndmask_b32_e32 v22, v12, v9, vcc_lo
	v_ashrrev_i32_e32 v23, 31, v22
	s_delay_alu instid0(VALU_DEP_1) | instskip(NEXT) | instid1(VALU_DEP_1)
	v_lshlrev_b64_e32 v[9:10], 4, v[22:23]
	v_add_co_u32 v9, vcc_lo, s8, v9
	s_wait_alu 0xfffd
	s_delay_alu instid0(VALU_DEP_2)
	v_add_co_ci_u32_e64 v10, null, s9, v10, vcc_lo
	global_load_b128 v[9:12], v[9:10], off
	s_wait_loadcnt 0x0
	v_cmp_neq_f64_e32 vcc_lo, 0, v[9:10]
	v_cmp_neq_f64_e64 s2, 0, v[11:12]
	s_or_b32 s22, vcc_lo, s2
	s_delay_alu instid0(SALU_CYCLE_1)
	s_and_saveexec_b32 s2, s22
	s_cbranch_execz .LBB46_34
; %bb.38:                               ;   in Loop: Header=BB46_35 Depth=1
	v_mul_f64_e32 v[29:30], v[11:12], v[11:12]
	s_mov_b32 s15, exec_lo
	s_delay_alu instid0(VALU_DEP_1) | instskip(NEXT) | instid1(VALU_DEP_1)
	v_fma_f64 v[29:30], v[9:10], v[9:10], v[29:30]
	v_div_scale_f64 v[31:32], null, v[29:30], v[29:30], 1.0
	v_div_scale_f64 v[37:38], vcc_lo, 1.0, v[29:30], 1.0
	s_delay_alu instid0(VALU_DEP_2) | instskip(NEXT) | instid1(TRANS32_DEP_1)
	v_rcp_f64_e32 v[33:34], v[31:32]
	v_fma_f64 v[35:36], -v[31:32], v[33:34], 1.0
	s_delay_alu instid0(VALU_DEP_1) | instskip(NEXT) | instid1(VALU_DEP_1)
	v_fma_f64 v[33:34], v[33:34], v[35:36], v[33:34]
	v_fma_f64 v[35:36], -v[31:32], v[33:34], 1.0
	s_delay_alu instid0(VALU_DEP_1) | instskip(NEXT) | instid1(VALU_DEP_1)
	v_fma_f64 v[33:34], v[33:34], v[35:36], v[33:34]
	v_mul_f64_e32 v[35:36], v[37:38], v[33:34]
	s_delay_alu instid0(VALU_DEP_1) | instskip(SKIP_3) | instid1(VALU_DEP_3)
	v_fma_f64 v[31:32], -v[31:32], v[35:36], v[37:38]
	v_mul_f64_e32 v[37:38], v[7:8], v[11:12]
	v_mul_f64_e64 v[11:12], v[11:12], -v[5:6]
	s_wait_alu 0xfffd
	v_div_fmas_f64 v[31:32], v[31:32], v[33:34], v[35:36]
	s_delay_alu instid0(VALU_DEP_3) | instskip(NEXT) | instid1(VALU_DEP_3)
	v_fma_f64 v[5:6], v[5:6], v[9:10], v[37:38]
	v_fma_f64 v[7:8], v[7:8], v[9:10], v[11:12]
	v_add_nc_u32_e32 v9, v27, v22
	s_delay_alu instid0(VALU_DEP_4) | instskip(NEXT) | instid1(VALU_DEP_1)
	v_div_fixup_f64 v[29:30], v[31:32], v[29:30], 1.0
	v_mul_f64_e32 v[5:6], v[5:6], v[29:30]
	s_delay_alu instid0(VALU_DEP_4)
	v_mul_f64_e32 v[7:8], v[7:8], v[29:30]
	global_store_b128 v[20:21], v[5:8], off
	v_cmpx_lt_i32_e64 v9, v28
	s_cbranch_execz .LBB46_33
; %bb.39:                               ;   in Loop: Header=BB46_35 Depth=1
	s_mov_b32 s22, 0
	s_branch .LBB46_41
.LBB46_40:                              ;   in Loop: Header=BB46_41 Depth=2
	s_or_b32 exec_lo, exec_lo, s23
	v_add_nc_u32_e32 v9, 64, v9
	s_delay_alu instid0(VALU_DEP_1) | instskip(SKIP_1) | instid1(SALU_CYCLE_1)
	v_cmp_ge_i32_e32 vcc_lo, v9, v28
	s_or_b32 s22, vcc_lo, s22
	s_and_not1_b32 exec_lo, exec_lo, s22
	s_cbranch_execz .LBB46_33
.LBB46_41:                              ;   Parent Loop BB46_35 Depth=1
                                        ; =>  This Loop Header: Depth=2
                                        ;       Child Loop BB46_50 Depth 3
	v_ashrrev_i32_e32 v10, 31, v9
	s_mov_b32 s23, 0
                                        ; implicit-def: $sgpr24
                                        ; implicit-def: $sgpr25
                                        ; implicit-def: $sgpr26
	s_delay_alu instid0(VALU_DEP_1) | instskip(NEXT) | instid1(VALU_DEP_1)
	v_lshlrev_b64_e32 v[11:12], 2, v[9:10]
	v_add_co_u32 v11, vcc_lo, s6, v11
	s_wait_alu 0xfffd
	s_delay_alu instid0(VALU_DEP_2)
	v_add_co_ci_u32_e64 v12, null, s7, v12, vcc_lo
	global_load_b32 v11, v[11:12], off
	v_mov_b32_e32 v12, 64
	s_wait_loadcnt 0x0
	v_mul_lo_u32 v21, v11, 39
	s_branch .LBB46_50
.LBB46_42:                              ;   in Loop: Header=BB46_50 Depth=3
	s_or_b32 exec_lo, exec_lo, s39
	s_delay_alu instid0(SALU_CYCLE_1)
	s_or_not1_b32 s37, s37, exec_lo
	s_or_not1_b32 s38, s38, exec_lo
.LBB46_43:                              ;   in Loop: Header=BB46_50 Depth=3
	s_or_b32 exec_lo, exec_lo, s36
	s_delay_alu instid0(SALU_CYCLE_1)
	s_and_b32 s37, s37, exec_lo
	s_or_not1_b32 s36, s38, exec_lo
.LBB46_44:                              ;   in Loop: Header=BB46_50 Depth=3
	s_or_b32 exec_lo, exec_lo, s35
	s_delay_alu instid0(SALU_CYCLE_1)
	s_or_not1_b32 s35, s37, exec_lo
	s_or_not1_b32 s36, s36, exec_lo
.LBB46_45:                              ;   in Loop: Header=BB46_50 Depth=3
	s_or_b32 exec_lo, exec_lo, s34
	s_delay_alu instid0(SALU_CYCLE_1)
	s_and_b32 s35, s35, exec_lo
	s_or_not1_b32 s34, s36, exec_lo
.LBB46_46:                              ;   in Loop: Header=BB46_50 Depth=3
	s_or_b32 exec_lo, exec_lo, s33
	s_delay_alu instid0(SALU_CYCLE_1)
	s_or_not1_b32 s33, s35, exec_lo
	s_or_not1_b32 s34, s34, exec_lo
.LBB46_47:                              ;   in Loop: Header=BB46_50 Depth=3
	s_or_b32 exec_lo, exec_lo, s31
	s_delay_alu instid0(SALU_CYCLE_1)
	s_and_b32 s33, s33, exec_lo
	s_or_not1_b32 s31, s34, exec_lo
.LBB46_48:                              ;   in Loop: Header=BB46_50 Depth=3
	s_or_b32 exec_lo, exec_lo, s30
	s_wait_alu 0xfffe
	s_and_not1_b32 s26, s26, exec_lo
	s_and_b32 s30, s33, exec_lo
	s_and_not1_b32 s25, s25, exec_lo
	s_and_b32 s31, s31, exec_lo
	s_wait_alu 0xfffe
	s_or_b32 s26, s26, s30
	s_or_b32 s25, s25, s31
.LBB46_49:                              ;   in Loop: Header=BB46_50 Depth=3
	s_wait_alu 0xfffe
	s_or_b32 exec_lo, exec_lo, s27
	s_delay_alu instid0(SALU_CYCLE_1)
	s_and_b32 s27, exec_lo, s25
	s_wait_alu 0xfffe
	s_or_b32 s23, s27, s23
	s_and_not1_b32 s24, s24, exec_lo
	s_and_b32 s27, s26, exec_lo
	s_wait_alu 0xfffe
	s_or_b32 s24, s24, s27
	s_and_not1_b32 exec_lo, exec_lo, s23
	s_cbranch_execz .LBB46_59
.LBB46_50:                              ;   Parent Loop BB46_35 Depth=1
                                        ;     Parent Loop BB46_41 Depth=2
                                        ; =>    This Inner Loop Header: Depth=3
	s_delay_alu instid0(VALU_DEP_1) | instskip(SKIP_3) | instid1(VALU_DEP_1)
	v_and_b32_e32 v20, 63, v21
	s_or_b32 s26, s26, exec_lo
	s_or_b32 s25, s25, exec_lo
	s_mov_b32 s27, exec_lo
	v_lshl_add_u32 v22, v20, 2, v25
	ds_load_b32 v22, v22
	s_wait_dscnt 0x0
	v_cmpx_ne_u32_e32 -1, v22
	s_cbranch_execz .LBB46_49
; %bb.51:                               ;   in Loop: Header=BB46_50 Depth=3
	s_mov_b32 s31, -1
	s_mov_b32 s33, 0
	s_mov_b32 s30, exec_lo
	v_cmpx_ne_u32_e64 v22, v11
	s_cbranch_execz .LBB46_48
; %bb.52:                               ;   in Loop: Header=BB46_50 Depth=3
	v_add_nc_u32_e32 v20, 1, v21
	s_mov_b32 s34, -1
	s_mov_b32 s33, -1
	s_mov_b32 s31, exec_lo
	s_delay_alu instid0(VALU_DEP_1) | instskip(NEXT) | instid1(VALU_DEP_1)
	v_and_b32_e32 v20, 63, v20
	v_lshl_add_u32 v22, v20, 2, v25
	ds_load_b32 v22, v22
	s_wait_dscnt 0x0
	v_cmpx_ne_u32_e32 -1, v22
	s_cbranch_execz .LBB46_47
; %bb.53:                               ;   in Loop: Header=BB46_50 Depth=3
	s_mov_b32 s35, 0
	s_mov_b32 s33, exec_lo
	v_cmpx_ne_u32_e64 v22, v11
	s_cbranch_execz .LBB46_46
; %bb.54:                               ;   in Loop: Header=BB46_50 Depth=3
	v_add_nc_u32_e32 v20, 2, v21
	s_mov_b32 s36, -1
	s_mov_b32 s35, -1
	s_mov_b32 s34, exec_lo
	s_delay_alu instid0(VALU_DEP_1) | instskip(NEXT) | instid1(VALU_DEP_1)
	v_and_b32_e32 v20, 63, v20
	v_lshl_add_u32 v22, v20, 2, v25
	ds_load_b32 v22, v22
	s_wait_dscnt 0x0
	v_cmpx_ne_u32_e32 -1, v22
	s_cbranch_execz .LBB46_45
; %bb.55:                               ;   in Loop: Header=BB46_50 Depth=3
	s_mov_b32 s37, 0
	s_mov_b32 s35, exec_lo
	v_cmpx_ne_u32_e64 v22, v11
	s_cbranch_execz .LBB46_44
; %bb.56:                               ;   in Loop: Header=BB46_50 Depth=3
	v_add_nc_u32_e32 v20, 3, v21
	s_mov_b32 s38, -1
	s_mov_b32 s37, -1
	s_mov_b32 s36, exec_lo
	s_delay_alu instid0(VALU_DEP_1) | instskip(NEXT) | instid1(VALU_DEP_1)
	v_and_b32_e32 v20, 63, v20
	v_lshl_add_u32 v21, v20, 2, v25
	ds_load_b32 v22, v21
                                        ; implicit-def: $vgpr21
	s_wait_dscnt 0x0
	v_cmpx_ne_u32_e32 -1, v22
	s_cbranch_execz .LBB46_43
; %bb.57:                               ;   in Loop: Header=BB46_50 Depth=3
	s_mov_b32 s37, 0
	s_mov_b32 s39, exec_lo
                                        ; implicit-def: $vgpr21
	v_cmpx_ne_u32_e64 v22, v11
	s_cbranch_execz .LBB46_42
; %bb.58:                               ;   in Loop: Header=BB46_50 Depth=3
	v_add_nc_u32_e32 v12, -4, v12
	v_add_nc_u32_e32 v21, 1, v20
	s_mov_b32 s37, exec_lo
	s_delay_alu instid0(VALU_DEP_2)
	v_cmp_eq_u32_e32 vcc_lo, 0, v12
	s_or_not1_b32 s38, vcc_lo, exec_lo
	s_branch .LBB46_42
.LBB46_59:                              ;   in Loop: Header=BB46_41 Depth=2
	s_or_b32 exec_lo, exec_lo, s23
	s_wait_alu 0xfffe
	s_xor_b32 s23, s24, -1
	s_delay_alu instid0(SALU_CYCLE_1)
	s_and_saveexec_b32 s24, s23
	s_wait_alu 0xfffe
	s_xor_b32 s23, exec_lo, s24
	s_cbranch_execz .LBB46_40
; %bb.60:                               ;   in Loop: Header=BB46_41 Depth=2
	v_lshl_add_u32 v11, v20, 2, v26
	v_lshlrev_b64_e32 v[20:21], 4, v[9:10]
	ds_load_b32 v11, v11
	v_add_co_u32 v20, vcc_lo, s8, v20
	s_wait_alu 0xfffd
	v_add_co_ci_u32_e64 v21, null, s9, v21, vcc_lo
	s_wait_dscnt 0x0
	v_ashrrev_i32_e32 v12, 31, v11
	s_delay_alu instid0(VALU_DEP_1) | instskip(NEXT) | instid1(VALU_DEP_1)
	v_lshlrev_b64_e32 v[10:11], 4, v[11:12]
	v_add_co_u32 v10, vcc_lo, s8, v10
	s_wait_alu 0xfffd
	s_delay_alu instid0(VALU_DEP_2)
	v_add_co_ci_u32_e64 v11, null, s9, v11, vcc_lo
	s_clause 0x1
	global_load_b128 v[20:23], v[20:21], off
	global_load_b128 v[29:32], v[10:11], off
	s_wait_loadcnt 0x0
	v_fma_f64 v[29:30], -v[5:6], v[20:21], v[29:30]
	v_fma_f64 v[31:32], -v[7:8], v[20:21], v[31:32]
	s_delay_alu instid0(VALU_DEP_2) | instskip(NEXT) | instid1(VALU_DEP_2)
	v_fma_f64 v[20:21], v[7:8], v[22:23], v[29:30]
	v_fma_f64 v[22:23], -v[5:6], v[22:23], v[31:32]
	global_store_b128 v[10:11], v[20:23], off
	s_branch .LBB46_40
.LBB46_61:
	s_wait_alu 0xfffe
	s_or_b32 exec_lo, exec_lo, s3
	s_delay_alu instid0(SALU_CYCLE_1)
	s_mov_b32 s3, exec_lo
	s_wait_loadcnt 0x0
	s_wait_storecnt 0x0
	global_inv scope:SCOPE_SE
	v_cmpx_lt_i32_e32 -1, v18
	s_cbranch_execz .LBB46_83
; %bb.62:
	v_mov_b32_e32 v19, 0
	s_mov_b32 s2, exec_lo
	s_delay_alu instid0(VALU_DEP_1) | instskip(NEXT) | instid1(VALU_DEP_1)
	v_lshlrev_b64_e32 v[5:6], 4, v[18:19]
	v_add_co_u32 v9, vcc_lo, s8, v5
	s_wait_alu 0xfffd
	s_delay_alu instid0(VALU_DEP_2)
	v_add_co_ci_u32_e64 v10, null, s9, v6, vcc_lo
	global_load_b128 v[5:8], v[9:10], off
	s_wait_loadcnt 0x0
	v_cmp_gt_f64_e32 vcc_lo, 0, v[5:6]
	v_xor_b32_e32 v12, 0x80000000, v6
	v_xor_b32_e32 v18, 0x80000000, v8
	v_dual_mov_b32 v11, v5 :: v_dual_mov_b32 v20, v7
	s_wait_alu 0xfffd
	s_delay_alu instid0(VALU_DEP_3) | instskip(SKIP_3) | instid1(VALU_DEP_1)
	v_cndmask_b32_e32 v12, v6, v12, vcc_lo
	v_cmp_gt_f64_e32 vcc_lo, 0, v[7:8]
	s_wait_alu 0xfffd
	v_cndmask_b32_e32 v21, v8, v18, vcc_lo
                                        ; implicit-def: $vgpr18_vgpr19
	v_cmpx_ngt_f64_e32 v[11:12], v[20:21]
	s_wait_alu 0xfffe
	s_xor_b32 s2, exec_lo, s2
	s_cbranch_execz .LBB46_66
; %bb.63:
	v_mov_b32_e32 v18, 0
	v_mov_b32_e32 v19, 0
	s_mov_b32 s4, exec_lo
	v_cmpx_neq_f64_e32 0, v[7:8]
	s_cbranch_execz .LBB46_65
; %bb.64:
	v_div_scale_f64 v[18:19], null, v[20:21], v[20:21], v[11:12]
	v_div_scale_f64 v[27:28], vcc_lo, v[11:12], v[20:21], v[11:12]
	s_delay_alu instid0(VALU_DEP_2) | instskip(NEXT) | instid1(TRANS32_DEP_1)
	v_rcp_f64_e32 v[22:23], v[18:19]
	v_fma_f64 v[25:26], -v[18:19], v[22:23], 1.0
	s_delay_alu instid0(VALU_DEP_1) | instskip(NEXT) | instid1(VALU_DEP_1)
	v_fma_f64 v[22:23], v[22:23], v[25:26], v[22:23]
	v_fma_f64 v[25:26], -v[18:19], v[22:23], 1.0
	s_delay_alu instid0(VALU_DEP_1) | instskip(NEXT) | instid1(VALU_DEP_1)
	v_fma_f64 v[22:23], v[22:23], v[25:26], v[22:23]
	v_mul_f64_e32 v[25:26], v[27:28], v[22:23]
	s_delay_alu instid0(VALU_DEP_1) | instskip(SKIP_1) | instid1(VALU_DEP_1)
	v_fma_f64 v[18:19], -v[18:19], v[25:26], v[27:28]
	s_wait_alu 0xfffd
	v_div_fmas_f64 v[18:19], v[18:19], v[22:23], v[25:26]
	s_delay_alu instid0(VALU_DEP_1) | instskip(NEXT) | instid1(VALU_DEP_1)
	v_div_fixup_f64 v[11:12], v[18:19], v[20:21], v[11:12]
	v_fma_f64 v[11:12], v[11:12], v[11:12], 1.0
	s_delay_alu instid0(VALU_DEP_1) | instskip(SKIP_2) | instid1(VALU_DEP_1)
	v_cmp_gt_f64_e32 vcc_lo, 0x10000000, v[11:12]
	s_wait_alu 0xfffd
	v_cndmask_b32_e64 v18, 0, 0x100, vcc_lo
	v_ldexp_f64 v[11:12], v[11:12], v18
	s_delay_alu instid0(VALU_DEP_1) | instskip(NEXT) | instid1(TRANS32_DEP_1)
	v_rsq_f64_e32 v[18:19], v[11:12]
	v_mul_f64_e32 v[22:23], v[11:12], v[18:19]
	v_mul_f64_e32 v[18:19], 0.5, v[18:19]
	s_delay_alu instid0(VALU_DEP_1) | instskip(NEXT) | instid1(VALU_DEP_1)
	v_fma_f64 v[25:26], -v[18:19], v[22:23], 0.5
	v_fma_f64 v[22:23], v[22:23], v[25:26], v[22:23]
	v_fma_f64 v[18:19], v[18:19], v[25:26], v[18:19]
	s_delay_alu instid0(VALU_DEP_2) | instskip(NEXT) | instid1(VALU_DEP_1)
	v_fma_f64 v[25:26], -v[22:23], v[22:23], v[11:12]
	v_fma_f64 v[22:23], v[25:26], v[18:19], v[22:23]
	s_delay_alu instid0(VALU_DEP_1) | instskip(NEXT) | instid1(VALU_DEP_1)
	v_fma_f64 v[25:26], -v[22:23], v[22:23], v[11:12]
	v_fma_f64 v[18:19], v[25:26], v[18:19], v[22:23]
	v_cndmask_b32_e64 v22, 0, 0xffffff80, vcc_lo
	v_cmp_class_f64_e64 vcc_lo, v[11:12], 0x260
	s_delay_alu instid0(VALU_DEP_2) | instskip(SKIP_1) | instid1(VALU_DEP_1)
	v_ldexp_f64 v[18:19], v[18:19], v22
	s_wait_alu 0xfffd
	v_dual_cndmask_b32 v12, v19, v12 :: v_dual_cndmask_b32 v11, v18, v11
	s_delay_alu instid0(VALU_DEP_1)
	v_mul_f64_e32 v[18:19], v[20:21], v[11:12]
.LBB46_65:
	s_wait_alu 0xfffe
	s_or_b32 exec_lo, exec_lo, s4
                                        ; implicit-def: $vgpr11_vgpr12
                                        ; implicit-def: $vgpr20_vgpr21
.LBB46_66:
	s_wait_alu 0xfffe
	s_and_not1_saveexec_b32 s2, s2
	s_cbranch_execz .LBB46_68
; %bb.67:
	v_div_scale_f64 v[18:19], null, v[11:12], v[11:12], v[20:21]
	v_div_scale_f64 v[27:28], vcc_lo, v[20:21], v[11:12], v[20:21]
	s_delay_alu instid0(VALU_DEP_2) | instskip(NEXT) | instid1(TRANS32_DEP_1)
	v_rcp_f64_e32 v[22:23], v[18:19]
	v_fma_f64 v[25:26], -v[18:19], v[22:23], 1.0
	s_delay_alu instid0(VALU_DEP_1) | instskip(NEXT) | instid1(VALU_DEP_1)
	v_fma_f64 v[22:23], v[22:23], v[25:26], v[22:23]
	v_fma_f64 v[25:26], -v[18:19], v[22:23], 1.0
	s_delay_alu instid0(VALU_DEP_1) | instskip(NEXT) | instid1(VALU_DEP_1)
	v_fma_f64 v[22:23], v[22:23], v[25:26], v[22:23]
	v_mul_f64_e32 v[25:26], v[27:28], v[22:23]
	s_delay_alu instid0(VALU_DEP_1) | instskip(SKIP_1) | instid1(VALU_DEP_1)
	v_fma_f64 v[18:19], -v[18:19], v[25:26], v[27:28]
	s_wait_alu 0xfffd
	v_div_fmas_f64 v[18:19], v[18:19], v[22:23], v[25:26]
	s_delay_alu instid0(VALU_DEP_1) | instskip(NEXT) | instid1(VALU_DEP_1)
	v_div_fixup_f64 v[18:19], v[18:19], v[11:12], v[20:21]
	v_fma_f64 v[18:19], v[18:19], v[18:19], 1.0
	s_delay_alu instid0(VALU_DEP_1) | instskip(SKIP_2) | instid1(VALU_DEP_1)
	v_cmp_gt_f64_e32 vcc_lo, 0x10000000, v[18:19]
	s_wait_alu 0xfffd
	v_cndmask_b32_e64 v20, 0, 0x100, vcc_lo
	v_ldexp_f64 v[18:19], v[18:19], v20
	s_delay_alu instid0(VALU_DEP_1) | instskip(NEXT) | instid1(TRANS32_DEP_1)
	v_rsq_f64_e32 v[20:21], v[18:19]
	v_mul_f64_e32 v[22:23], v[18:19], v[20:21]
	v_mul_f64_e32 v[20:21], 0.5, v[20:21]
	s_delay_alu instid0(VALU_DEP_1) | instskip(NEXT) | instid1(VALU_DEP_1)
	v_fma_f64 v[25:26], -v[20:21], v[22:23], 0.5
	v_fma_f64 v[22:23], v[22:23], v[25:26], v[22:23]
	v_fma_f64 v[20:21], v[20:21], v[25:26], v[20:21]
	s_delay_alu instid0(VALU_DEP_2) | instskip(NEXT) | instid1(VALU_DEP_1)
	v_fma_f64 v[25:26], -v[22:23], v[22:23], v[18:19]
	v_fma_f64 v[22:23], v[25:26], v[20:21], v[22:23]
	s_delay_alu instid0(VALU_DEP_1) | instskip(NEXT) | instid1(VALU_DEP_1)
	v_fma_f64 v[25:26], -v[22:23], v[22:23], v[18:19]
	v_fma_f64 v[20:21], v[25:26], v[20:21], v[22:23]
	v_cndmask_b32_e64 v22, 0, 0xffffff80, vcc_lo
	v_cmp_class_f64_e64 vcc_lo, v[18:19], 0x260
	s_delay_alu instid0(VALU_DEP_2) | instskip(SKIP_1) | instid1(VALU_DEP_1)
	v_ldexp_f64 v[20:21], v[20:21], v22
	s_wait_alu 0xfffd
	v_dual_cndmask_b32 v19, v21, v19 :: v_dual_cndmask_b32 v18, v20, v18
	s_delay_alu instid0(VALU_DEP_1)
	v_mul_f64_e32 v[18:19], v[11:12], v[18:19]
.LBB46_68:
	s_wait_alu 0xfffe
	s_or_b32 exec_lo, exec_lo, s2
	v_cmp_ne_u32_e32 vcc_lo, 1, v24
	v_cmp_eq_u32_e64 s2, 0, v0
	s_mov_b32 s4, -1
	s_cbranch_vccnz .LBB46_72
; %bb.69:
	v_cvt_f64_f32_e32 v[11:12], s29
	s_cmp_eq_u64 s[20:21], 8
	s_cselect_b32 vcc_lo, -1, 0
	s_wait_alu 0xfffe
	s_delay_alu instid0(VALU_DEP_1) | instskip(NEXT) | instid1(VALU_DEP_1)
	v_dual_cndmask_b32 v12, v12, v16 :: v_dual_cndmask_b32 v11, v11, v15
	v_cmp_le_f64_e32 vcc_lo, v[18:19], v[11:12]
	s_and_b32 s5, s2, vcc_lo
	s_wait_alu 0xfffe
	s_and_saveexec_b32 s4, s5
	s_cbranch_execz .LBB46_71
; %bb.70:
	global_store_b128 v[9:10], v[1:4], off
	s_wait_storecnt 0x0
	global_inv scope:SCOPE_DEV
.LBB46_71:
	s_wait_alu 0xfffe
	s_or_b32 exec_lo, exec_lo, s4
	s_mov_b32 s4, 0
.LBB46_72:
	s_wait_alu 0xfffe
	s_and_not1_b32 vcc_lo, exec_lo, s4
	s_wait_alu 0xfffe
	s_cbranch_vccnz .LBB46_83
; %bb.73:
	s_load_b64 s[0:1], s[0:1], 0x48
	v_add_nc_u32_e32 v1, s28, v17
	s_wait_kmcnt 0x0
	v_cmp_ge_f64_e32 vcc_lo, s[0:1], v[18:19]
	s_and_b32 s1, s2, vcc_lo
	s_wait_alu 0xfffe
	s_and_saveexec_b32 s0, s1
	s_cbranch_execz .LBB46_78
; %bb.74:
	s_mov_b32 s4, exec_lo
	s_brev_b32 s1, -2
.LBB46_75:                              ; =>This Inner Loop Header: Depth=1
	s_wait_alu 0xfffe
	s_ctz_i32_b32 s5, s4
	s_wait_alu 0xfffe
	v_readlane_b32 s6, v1, s5
	s_lshl_b32 s5, 1, s5
	s_wait_alu 0xfffe
	s_and_not1_b32 s4, s4, s5
	s_min_i32 s1, s1, s6
	s_wait_alu 0xfffe
	s_cmp_lg_u32 s4, 0
	s_cbranch_scc1 .LBB46_75
; %bb.76:
	v_mbcnt_lo_u32_b32 v2, exec_lo, 0
	s_mov_b32 s4, exec_lo
	s_delay_alu instid0(VALU_DEP_1)
	v_cmpx_eq_u32_e32 0, v2
	s_wait_alu 0xfffe
	s_xor_b32 s4, exec_lo, s4
	s_cbranch_execz .LBB46_78
; %bb.77:
	v_dual_mov_b32 v2, 0 :: v_dual_mov_b32 v3, s1
	global_atomic_min_i32 v2, v3, s[18:19] scope:SCOPE_DEV
.LBB46_78:
	s_wait_alu 0xfffe
	s_or_b32 exec_lo, exec_lo, s0
	v_cmp_eq_f64_e32 vcc_lo, 0, v[5:6]
	v_cmp_eq_f64_e64 s0, 0, v[7:8]
	s_and_b32 s0, vcc_lo, s0
	s_wait_alu 0xfffe
	s_and_b32 s0, s2, s0
	s_wait_alu 0xfffe
	s_and_b32 exec_lo, exec_lo, s0
	s_cbranch_execz .LBB46_83
; %bb.79:
	s_mov_b32 s1, exec_lo
	s_brev_b32 s0, -2
.LBB46_80:                              ; =>This Inner Loop Header: Depth=1
	s_wait_alu 0xfffe
	s_ctz_i32_b32 s2, s1
	s_wait_alu 0xfffe
	v_readlane_b32 s4, v1, s2
	s_lshl_b32 s2, 1, s2
	s_wait_alu 0xfffe
	s_and_not1_b32 s1, s1, s2
	s_min_i32 s0, s0, s4
	s_wait_alu 0xfffe
	s_cmp_lg_u32 s1, 0
	s_cbranch_scc1 .LBB46_80
; %bb.81:
	v_mbcnt_lo_u32_b32 v1, exec_lo, 0
	s_mov_b32 s1, exec_lo
	s_delay_alu instid0(VALU_DEP_1)
	v_cmpx_eq_u32_e32 0, v1
	s_wait_alu 0xfffe
	s_xor_b32 s1, exec_lo, s1
	s_cbranch_execz .LBB46_83
; %bb.82:
	v_dual_mov_b32 v1, 0 :: v_dual_mov_b32 v2, s0
	global_atomic_min_i32 v1, v2, s[16:17] scope:SCOPE_DEV
.LBB46_83:
	s_wait_alu 0xfffe
	s_or_b32 exec_lo, exec_lo, s3
	v_cmp_eq_u32_e32 vcc_lo, 0, v0
	s_wait_loadcnt 0x0
	s_wait_storecnt 0x0
	global_inv scope:SCOPE_DEV
	s_and_b32 exec_lo, exec_lo, vcc_lo
	s_cbranch_execz .LBB46_85
; %bb.84:
	v_add_co_u32 v0, vcc_lo, s12, v13
	s_wait_alu 0xfffd
	v_add_co_ci_u32_e64 v1, null, s13, v14, vcc_lo
	v_mov_b32_e32 v2, 1
	s_wait_loadcnt 0x0
	global_store_b32 v[0:1], v2, off scope:SCOPE_DEV
.LBB46_85:
	s_endpgm
	.section	.rodata,"a",@progbits
	.p2align	6, 0x0
	.amdhsa_kernel _ZN9rocsparseL12csrilu0_hashILj256ELj64ELj1E21rocsparse_complex_numIdEEEviPKiS4_PT2_S4_PiS4_S7_S7_d21rocsparse_index_base_imNS_24const_host_device_scalarIfEENS9_IdEENS9_IS5_EEb
		.amdhsa_group_segment_fixed_size 2048
		.amdhsa_private_segment_fixed_size 16
		.amdhsa_kernarg_size 132
		.amdhsa_user_sgpr_count 2
		.amdhsa_user_sgpr_dispatch_ptr 0
		.amdhsa_user_sgpr_queue_ptr 0
		.amdhsa_user_sgpr_kernarg_segment_ptr 1
		.amdhsa_user_sgpr_dispatch_id 0
		.amdhsa_user_sgpr_private_segment_size 0
		.amdhsa_wavefront_size32 1
		.amdhsa_uses_dynamic_stack 0
		.amdhsa_enable_private_segment 1
		.amdhsa_system_sgpr_workgroup_id_x 1
		.amdhsa_system_sgpr_workgroup_id_y 0
		.amdhsa_system_sgpr_workgroup_id_z 0
		.amdhsa_system_sgpr_workgroup_info 0
		.amdhsa_system_vgpr_workitem_id 0
		.amdhsa_next_free_vgpr 39
		.amdhsa_next_free_sgpr 40
		.amdhsa_reserve_vcc 1
		.amdhsa_float_round_mode_32 0
		.amdhsa_float_round_mode_16_64 0
		.amdhsa_float_denorm_mode_32 3
		.amdhsa_float_denorm_mode_16_64 3
		.amdhsa_fp16_overflow 0
		.amdhsa_workgroup_processor_mode 1
		.amdhsa_memory_ordered 1
		.amdhsa_forward_progress 1
		.amdhsa_inst_pref_size 32
		.amdhsa_round_robin_scheduling 0
		.amdhsa_exception_fp_ieee_invalid_op 0
		.amdhsa_exception_fp_denorm_src 0
		.amdhsa_exception_fp_ieee_div_zero 0
		.amdhsa_exception_fp_ieee_overflow 0
		.amdhsa_exception_fp_ieee_underflow 0
		.amdhsa_exception_fp_ieee_inexact 0
		.amdhsa_exception_int_div_zero 0
	.end_amdhsa_kernel
	.section	.text._ZN9rocsparseL12csrilu0_hashILj256ELj64ELj1E21rocsparse_complex_numIdEEEviPKiS4_PT2_S4_PiS4_S7_S7_d21rocsparse_index_base_imNS_24const_host_device_scalarIfEENS9_IdEENS9_IS5_EEb,"axG",@progbits,_ZN9rocsparseL12csrilu0_hashILj256ELj64ELj1E21rocsparse_complex_numIdEEEviPKiS4_PT2_S4_PiS4_S7_S7_d21rocsparse_index_base_imNS_24const_host_device_scalarIfEENS9_IdEENS9_IS5_EEb,comdat
.Lfunc_end46:
	.size	_ZN9rocsparseL12csrilu0_hashILj256ELj64ELj1E21rocsparse_complex_numIdEEEviPKiS4_PT2_S4_PiS4_S7_S7_d21rocsparse_index_base_imNS_24const_host_device_scalarIfEENS9_IdEENS9_IS5_EEb, .Lfunc_end46-_ZN9rocsparseL12csrilu0_hashILj256ELj64ELj1E21rocsparse_complex_numIdEEEviPKiS4_PT2_S4_PiS4_S7_S7_d21rocsparse_index_base_imNS_24const_host_device_scalarIfEENS9_IdEENS9_IS5_EEb
                                        ; -- End function
	.set _ZN9rocsparseL12csrilu0_hashILj256ELj64ELj1E21rocsparse_complex_numIdEEEviPKiS4_PT2_S4_PiS4_S7_S7_d21rocsparse_index_base_imNS_24const_host_device_scalarIfEENS9_IdEENS9_IS5_EEb.num_vgpr, 39
	.set _ZN9rocsparseL12csrilu0_hashILj256ELj64ELj1E21rocsparse_complex_numIdEEEviPKiS4_PT2_S4_PiS4_S7_S7_d21rocsparse_index_base_imNS_24const_host_device_scalarIfEENS9_IdEENS9_IS5_EEb.num_agpr, 0
	.set _ZN9rocsparseL12csrilu0_hashILj256ELj64ELj1E21rocsparse_complex_numIdEEEviPKiS4_PT2_S4_PiS4_S7_S7_d21rocsparse_index_base_imNS_24const_host_device_scalarIfEENS9_IdEENS9_IS5_EEb.numbered_sgpr, 40
	.set _ZN9rocsparseL12csrilu0_hashILj256ELj64ELj1E21rocsparse_complex_numIdEEEviPKiS4_PT2_S4_PiS4_S7_S7_d21rocsparse_index_base_imNS_24const_host_device_scalarIfEENS9_IdEENS9_IS5_EEb.num_named_barrier, 0
	.set _ZN9rocsparseL12csrilu0_hashILj256ELj64ELj1E21rocsparse_complex_numIdEEEviPKiS4_PT2_S4_PiS4_S7_S7_d21rocsparse_index_base_imNS_24const_host_device_scalarIfEENS9_IdEENS9_IS5_EEb.private_seg_size, 16
	.set _ZN9rocsparseL12csrilu0_hashILj256ELj64ELj1E21rocsparse_complex_numIdEEEviPKiS4_PT2_S4_PiS4_S7_S7_d21rocsparse_index_base_imNS_24const_host_device_scalarIfEENS9_IdEENS9_IS5_EEb.uses_vcc, 1
	.set _ZN9rocsparseL12csrilu0_hashILj256ELj64ELj1E21rocsparse_complex_numIdEEEviPKiS4_PT2_S4_PiS4_S7_S7_d21rocsparse_index_base_imNS_24const_host_device_scalarIfEENS9_IdEENS9_IS5_EEb.uses_flat_scratch, 0
	.set _ZN9rocsparseL12csrilu0_hashILj256ELj64ELj1E21rocsparse_complex_numIdEEEviPKiS4_PT2_S4_PiS4_S7_S7_d21rocsparse_index_base_imNS_24const_host_device_scalarIfEENS9_IdEENS9_IS5_EEb.has_dyn_sized_stack, 0
	.set _ZN9rocsparseL12csrilu0_hashILj256ELj64ELj1E21rocsparse_complex_numIdEEEviPKiS4_PT2_S4_PiS4_S7_S7_d21rocsparse_index_base_imNS_24const_host_device_scalarIfEENS9_IdEENS9_IS5_EEb.has_recursion, 0
	.set _ZN9rocsparseL12csrilu0_hashILj256ELj64ELj1E21rocsparse_complex_numIdEEEviPKiS4_PT2_S4_PiS4_S7_S7_d21rocsparse_index_base_imNS_24const_host_device_scalarIfEENS9_IdEENS9_IS5_EEb.has_indirect_call, 0
	.section	.AMDGPU.csdata,"",@progbits
; Kernel info:
; codeLenInByte = 4012
; TotalNumSgprs: 42
; NumVgprs: 39
; ScratchSize: 16
; MemoryBound: 0
; FloatMode: 240
; IeeeMode: 1
; LDSByteSize: 2048 bytes/workgroup (compile time only)
; SGPRBlocks: 0
; VGPRBlocks: 4
; NumSGPRsForWavesPerEU: 42
; NumVGPRsForWavesPerEU: 39
; Occupancy: 16
; WaveLimiterHint : 1
; COMPUTE_PGM_RSRC2:SCRATCH_EN: 1
; COMPUTE_PGM_RSRC2:USER_SGPR: 2
; COMPUTE_PGM_RSRC2:TRAP_HANDLER: 0
; COMPUTE_PGM_RSRC2:TGID_X_EN: 1
; COMPUTE_PGM_RSRC2:TGID_Y_EN: 0
; COMPUTE_PGM_RSRC2:TGID_Z_EN: 0
; COMPUTE_PGM_RSRC2:TIDIG_COMP_CNT: 0
	.section	.text._ZN9rocsparseL12csrilu0_hashILj256ELj64ELj2E21rocsparse_complex_numIdEEEviPKiS4_PT2_S4_PiS4_S7_S7_d21rocsparse_index_base_imNS_24const_host_device_scalarIfEENS9_IdEENS9_IS5_EEb,"axG",@progbits,_ZN9rocsparseL12csrilu0_hashILj256ELj64ELj2E21rocsparse_complex_numIdEEEviPKiS4_PT2_S4_PiS4_S7_S7_d21rocsparse_index_base_imNS_24const_host_device_scalarIfEENS9_IdEENS9_IS5_EEb,comdat
	.globl	_ZN9rocsparseL12csrilu0_hashILj256ELj64ELj2E21rocsparse_complex_numIdEEEviPKiS4_PT2_S4_PiS4_S7_S7_d21rocsparse_index_base_imNS_24const_host_device_scalarIfEENS9_IdEENS9_IS5_EEb ; -- Begin function _ZN9rocsparseL12csrilu0_hashILj256ELj64ELj2E21rocsparse_complex_numIdEEEviPKiS4_PT2_S4_PiS4_S7_S7_d21rocsparse_index_base_imNS_24const_host_device_scalarIfEENS9_IdEENS9_IS5_EEb
	.p2align	8
	.type	_ZN9rocsparseL12csrilu0_hashILj256ELj64ELj2E21rocsparse_complex_numIdEEEviPKiS4_PT2_S4_PiS4_S7_S7_d21rocsparse_index_base_imNS_24const_host_device_scalarIfEENS9_IdEENS9_IS5_EEb,@function
_ZN9rocsparseL12csrilu0_hashILj256ELj64ELj2E21rocsparse_complex_numIdEEEviPKiS4_PT2_S4_PiS4_S7_S7_d21rocsparse_index_base_imNS_24const_host_device_scalarIfEENS9_IdEENS9_IS5_EEb: ; @_ZN9rocsparseL12csrilu0_hashILj256ELj64ELj2E21rocsparse_complex_numIdEEEviPKiS4_PT2_S4_PiS4_S7_S7_d21rocsparse_index_base_imNS_24const_host_device_scalarIfEENS9_IdEENS9_IS5_EEb
; %bb.0:
	s_clause 0x2
	s_load_b96 s[4:6], s[0:1], 0x78
	s_load_b64 s[28:29], s[0:1], 0x50
	s_load_b256 s[20:27], s[0:1], 0x58
	s_wait_kmcnt 0x0
	s_bitcmp1_b32 s6, 0
	s_cselect_b32 s6, -1, 0
	s_cmp_eq_u32 s29, 0
	v_dual_mov_b32 v1, s26 :: v_dual_mov_b32 v2, s27
	s_cselect_b32 s2, -1, 0
	s_cmp_lg_u32 s29, 0
	s_cselect_b32 s7, -1, 0
	s_or_b32 s9, s2, s6
	scratch_store_b64 off, v[1:2], off
	s_xor_b32 s8, s9, -1
	s_and_b32 s2, s2, exec_lo
	s_cselect_b32 s3, 0, s25
	s_cselect_b32 s2, 0, s24
	;; [unrolled: 1-line block ×3, first 2 shown]
	s_and_b32 vcc_lo, exec_lo, s9
	s_cbranch_vccnz .LBB47_2
; %bb.1:
	s_load_b32 s29, s[22:23], 0x0
	s_mov_b64 s[2:3], s[24:25]
.LBB47_2:
	s_delay_alu instid0(SALU_CYCLE_1)
	v_dual_mov_b32 v16, s3 :: v_dual_mov_b32 v15, s2
	s_and_not1_b32 vcc_lo, exec_lo, s8
	s_cbranch_vccnz .LBB47_4
; %bb.3:
	v_dual_mov_b32 v1, s24 :: v_dual_mov_b32 v2, s25
	flat_load_b64 v[15:16], v[1:2]
.LBB47_4:
	v_mov_b32_e32 v3, 0
	v_dual_mov_b32 v4, 0 :: v_dual_mov_b32 v1, 0
	v_cndmask_b32_e64 v25, 0, 1, s7
	v_mov_b32_e32 v2, 0
	s_and_not1_b32 vcc_lo, exec_lo, s7
	s_cbranch_vccnz .LBB47_7
; %bb.5:
	s_mov_b64 s[2:3], src_private_base
	s_xor_b32 s2, s6, -1
	s_and_b32 s6, s6, exec_lo
	s_cselect_b32 s6, 0, s26
	s_wait_alu 0xfffe
	s_cselect_b32 s3, s3, s27
	s_wait_alu 0xfffe
	v_dual_mov_b32 v1, s6 :: v_dual_mov_b32 v2, s3
	v_dual_mov_b32 v3, s4 :: v_dual_mov_b32 v4, s5
	s_and_not1_b32 vcc_lo, exec_lo, s2
	flat_load_b64 v[1:2], v[1:2]
	s_cbranch_vccnz .LBB47_7
; %bb.6:
	v_dual_mov_b32 v3, s26 :: v_dual_mov_b32 v4, s27
	flat_load_b64 v[3:4], v[3:4] offset:8
.LBB47_7:
	v_lshrrev_b32_e32 v5, 6, v0
	v_and_b32_e32 v24, 63, v0
	s_mov_b32 s2, 0
	s_delay_alu instid0(VALU_DEP_2) | instskip(NEXT) | instid1(VALU_DEP_2)
	v_lshlrev_b32_e32 v7, 9, v5
	v_lshlrev_b32_e32 v8, 2, v24
	v_or_b32_e32 v6, 0xffffffc0, v24
	s_delay_alu instid0(VALU_DEP_2)
	v_or3_b32 v7, v7, v8, 0x800
	v_mov_b32_e32 v8, -1
.LBB47_8:                               ; =>This Inner Loop Header: Depth=1
	s_delay_alu instid0(VALU_DEP_3)
	v_add_co_u32 v6, s3, v6, 64
	s_xor_b32 s3, s3, -1
	ds_store_b32 v7, v8
	v_add_nc_u32_e32 v7, 0x100, v7
	s_wait_alu 0xfffe
	s_and_b32 s3, exec_lo, s3
	s_wait_alu 0xfffe
	s_or_b32 s2, s3, s2
	s_wait_alu 0xfffe
	s_and_not1_b32 exec_lo, exec_lo, s2
	s_cbranch_execnz .LBB47_8
; %bb.9:
	s_or_b32 exec_lo, exec_lo, s2
	s_load_b32 s2, s[0:1], 0x0
	s_lshl_b32 s3, ttmp9, 2
	s_wait_storecnt 0x0
	s_wait_loadcnt_dscnt 0x0
	global_inv scope:SCOPE_SE
	s_wait_alu 0xfffe
	v_and_or_b32 v5, 0x3fffffc, s3, v5
	s_wait_kmcnt 0x0
	s_delay_alu instid0(VALU_DEP_1)
	v_cmp_gt_i32_e32 vcc_lo, s2, v5
	s_and_saveexec_b32 s2, vcc_lo
	s_cbranch_execz .LBB47_87
; %bb.10:
	s_load_b512 s[4:19], s[0:1], 0x8
	v_lshlrev_b32_e32 v5, 2, v5
	v_lshlrev_b32_e32 v0, 3, v0
	s_mov_b32 s2, exec_lo
	s_delay_alu instid0(VALU_DEP_1) | instskip(NEXT) | instid1(VALU_DEP_1)
	v_and_b32_e32 v0, 0x600, v0
	v_or_b32_e32 v26, 0x800, v0
	s_wait_kmcnt 0x0
	global_load_b32 v17, v5, s[14:15]
	s_wait_loadcnt 0x0
	v_ashrrev_i32_e32 v18, 31, v17
	s_delay_alu instid0(VALU_DEP_1) | instskip(NEXT) | instid1(VALU_DEP_1)
	v_lshlrev_b64_e32 v[13:14], 2, v[17:18]
	v_add_co_u32 v5, vcc_lo, s4, v13
	s_delay_alu instid0(VALU_DEP_1)
	v_add_co_ci_u32_e64 v6, null, s5, v14, vcc_lo
	v_add_co_u32 v7, vcc_lo, s10, v13
	s_wait_alu 0xfffd
	v_add_co_ci_u32_e64 v8, null, s11, v14, vcc_lo
	global_load_b64 v[5:6], v[5:6], off
	global_load_b32 v18, v[7:8], off
	s_wait_loadcnt 0x1
	v_subrev_nc_u32_e32 v19, s28, v5
	v_subrev_nc_u32_e32 v7, s28, v6
	s_delay_alu instid0(VALU_DEP_2) | instskip(NEXT) | instid1(VALU_DEP_1)
	v_add_nc_u32_e32 v5, v19, v24
	v_cmpx_lt_i32_e64 v5, v7
	s_cbranch_execz .LBB47_33
; %bb.11:
	v_mov_b32_e32 v8, -1
	s_mov_b32 s3, 0
	s_branch .LBB47_13
.LBB47_12:                              ;   in Loop: Header=BB47_13 Depth=1
	s_or_b32 exec_lo, exec_lo, s14
	v_add_nc_u32_e32 v5, 64, v5
	s_delay_alu instid0(VALU_DEP_1)
	v_cmp_ge_i32_e32 vcc_lo, v5, v7
	s_or_b32 s3, vcc_lo, s3
	s_wait_alu 0xfffe
	s_and_not1_b32 exec_lo, exec_lo, s3
	s_cbranch_execz .LBB47_33
.LBB47_13:                              ; =>This Loop Header: Depth=1
                                        ;     Child Loop BB47_22 Depth 2
	v_ashrrev_i32_e32 v6, 31, v5
	s_mov_b32 s14, 0
                                        ; implicit-def: $sgpr15
                                        ; implicit-def: $sgpr22
                                        ; implicit-def: $sgpr23
	s_delay_alu instid0(VALU_DEP_1) | instskip(NEXT) | instid1(VALU_DEP_1)
	v_lshlrev_b64_e32 v[9:10], 2, v[5:6]
	v_add_co_u32 v9, vcc_lo, s6, v9
	s_wait_alu 0xfffd
	s_delay_alu instid0(VALU_DEP_2)
	v_add_co_ci_u32_e64 v10, null, s7, v10, vcc_lo
	global_load_b32 v6, v[9:10], off
	v_mov_b32_e32 v9, 0x80
	s_wait_loadcnt 0x0
	v_mul_lo_u32 v11, 0x67, v6
	s_branch .LBB47_22
.LBB47_14:                              ;   in Loop: Header=BB47_22 Depth=2
	s_or_b32 exec_lo, exec_lo, s36
	s_delay_alu instid0(SALU_CYCLE_1)
	s_or_not1_b32 s34, s34, exec_lo
	s_or_not1_b32 s35, s35, exec_lo
.LBB47_15:                              ;   in Loop: Header=BB47_22 Depth=2
	s_or_b32 exec_lo, exec_lo, s33
	s_delay_alu instid0(SALU_CYCLE_1)
	s_and_b32 s34, s34, exec_lo
	s_or_not1_b32 s33, s35, exec_lo
.LBB47_16:                              ;   in Loop: Header=BB47_22 Depth=2
	s_or_b32 exec_lo, exec_lo, s31
	s_delay_alu instid0(SALU_CYCLE_1)
	s_or_not1_b32 s31, s34, exec_lo
	s_or_not1_b32 s33, s33, exec_lo
.LBB47_17:                              ;   in Loop: Header=BB47_22 Depth=2
	s_or_b32 exec_lo, exec_lo, s30
	s_delay_alu instid0(SALU_CYCLE_1)
	s_and_b32 s31, s31, exec_lo
	s_or_not1_b32 s30, s33, exec_lo
.LBB47_18:                              ;   in Loop: Header=BB47_22 Depth=2
	s_wait_alu 0xfffe
	s_or_b32 exec_lo, exec_lo, s27
	s_delay_alu instid0(SALU_CYCLE_1)
	s_or_not1_b32 s27, s31, exec_lo
	s_or_not1_b32 s30, s30, exec_lo
.LBB47_19:                              ;   in Loop: Header=BB47_22 Depth=2
	s_wait_alu 0xfffe
	s_or_b32 exec_lo, exec_lo, s26
	s_delay_alu instid0(SALU_CYCLE_1)
	s_and_b32 s27, s27, exec_lo
	s_or_not1_b32 s26, s30, exec_lo
.LBB47_20:                              ;   in Loop: Header=BB47_22 Depth=2
	s_wait_alu 0xfffe
	s_or_b32 exec_lo, exec_lo, s25
	s_delay_alu instid0(SALU_CYCLE_1)
	s_and_not1_b32 s23, s23, exec_lo
	s_and_b32 s25, s27, exec_lo
	s_and_not1_b32 s22, s22, exec_lo
	s_and_b32 s26, s26, exec_lo
	s_wait_alu 0xfffe
	s_or_b32 s23, s23, s25
	s_or_b32 s22, s22, s26
.LBB47_21:                              ;   in Loop: Header=BB47_22 Depth=2
	s_wait_alu 0xfffe
	s_or_b32 exec_lo, exec_lo, s24
	s_delay_alu instid0(SALU_CYCLE_1)
	s_and_b32 s24, exec_lo, s22
	s_wait_alu 0xfffe
	s_or_b32 s14, s24, s14
	s_and_not1_b32 s15, s15, exec_lo
	s_and_b32 s24, s23, exec_lo
	s_wait_alu 0xfffe
	s_or_b32 s15, s15, s24
	s_and_not1_b32 exec_lo, exec_lo, s14
	s_cbranch_execz .LBB47_31
.LBB47_22:                              ;   Parent Loop BB47_13 Depth=1
                                        ; =>  This Inner Loop Header: Depth=2
	s_delay_alu instid0(VALU_DEP_1) | instskip(SKIP_3) | instid1(VALU_DEP_1)
	v_and_b32_e32 v10, 0x7f, v11
	s_or_b32 s23, s23, exec_lo
	s_or_b32 s22, s22, exec_lo
	s_mov_b32 s24, exec_lo
	v_lshl_add_u32 v12, v10, 2, v26
	ds_load_b32 v20, v12
	s_wait_dscnt 0x0
	v_cmpx_ne_u32_e64 v20, v6
	s_cbranch_execz .LBB47_21
; %bb.23:                               ;   in Loop: Header=BB47_22 Depth=2
	ds_cmpstore_rtn_b32 v12, v12, v6, v8
	s_mov_b32 s26, -1
	s_mov_b32 s27, 0
	s_mov_b32 s25, exec_lo
	s_wait_dscnt 0x0
	v_cmpx_ne_u32_e32 -1, v12
	s_cbranch_execz .LBB47_20
; %bb.24:                               ;   in Loop: Header=BB47_22 Depth=2
	v_add_nc_u32_e32 v10, 1, v11
	s_mov_b32 s30, -1
	s_mov_b32 s27, -1
	s_mov_b32 s26, exec_lo
	s_delay_alu instid0(VALU_DEP_1) | instskip(NEXT) | instid1(VALU_DEP_1)
	v_and_b32_e32 v10, 0x7f, v10
	v_lshl_add_u32 v12, v10, 2, v26
	ds_load_b32 v20, v12
	s_wait_dscnt 0x0
	v_cmpx_ne_u32_e64 v20, v6
	s_cbranch_execz .LBB47_19
; %bb.25:                               ;   in Loop: Header=BB47_22 Depth=2
	ds_cmpstore_rtn_b32 v12, v12, v6, v8
	s_mov_b32 s31, 0
	s_mov_b32 s27, exec_lo
	s_wait_dscnt 0x0
	v_cmpx_ne_u32_e32 -1, v12
	s_cbranch_execz .LBB47_18
; %bb.26:                               ;   in Loop: Header=BB47_22 Depth=2
	v_add_nc_u32_e32 v10, 2, v11
	s_mov_b32 s33, -1
	s_mov_b32 s31, -1
	s_mov_b32 s30, exec_lo
	s_delay_alu instid0(VALU_DEP_1) | instskip(NEXT) | instid1(VALU_DEP_1)
	v_and_b32_e32 v10, 0x7f, v10
	v_lshl_add_u32 v12, v10, 2, v26
	ds_load_b32 v20, v12
	s_wait_dscnt 0x0
	v_cmpx_ne_u32_e64 v20, v6
	s_cbranch_execz .LBB47_17
; %bb.27:                               ;   in Loop: Header=BB47_22 Depth=2
	ds_cmpstore_rtn_b32 v12, v12, v6, v8
	s_mov_b32 s34, 0
	s_mov_b32 s31, exec_lo
	s_wait_dscnt 0x0
	v_cmpx_ne_u32_e32 -1, v12
	s_cbranch_execz .LBB47_16
; %bb.28:                               ;   in Loop: Header=BB47_22 Depth=2
	v_add_nc_u32_e32 v10, 3, v11
	s_mov_b32 s35, -1
	s_mov_b32 s34, -1
	s_delay_alu instid0(VALU_DEP_1) | instskip(NEXT) | instid1(VALU_DEP_1)
	v_and_b32_e32 v10, 0x7f, v10
	v_lshl_add_u32 v12, v10, 2, v26
	ds_load_b32 v11, v12
	s_wait_dscnt 0x0
	v_cmp_ne_u32_e32 vcc_lo, v11, v6
                                        ; implicit-def: $vgpr11
	s_and_saveexec_b32 s33, vcc_lo
	s_cbranch_execz .LBB47_15
; %bb.29:                               ;   in Loop: Header=BB47_22 Depth=2
	ds_cmpstore_rtn_b32 v11, v12, v6, v8
	s_mov_b32 s34, 0
	s_wait_dscnt 0x0
	v_cmp_ne_u32_e32 vcc_lo, -1, v11
                                        ; implicit-def: $vgpr11
	s_and_saveexec_b32 s36, vcc_lo
	s_cbranch_execz .LBB47_14
; %bb.30:                               ;   in Loop: Header=BB47_22 Depth=2
	v_add_nc_u32_e32 v9, -4, v9
	v_add_nc_u32_e32 v11, 1, v10
	s_mov_b32 s34, exec_lo
	s_delay_alu instid0(VALU_DEP_2)
	v_cmp_eq_u32_e32 vcc_lo, 0, v9
	s_or_not1_b32 s35, vcc_lo, exec_lo
	s_branch .LBB47_14
.LBB47_31:                              ;   in Loop: Header=BB47_13 Depth=1
	s_or_b32 exec_lo, exec_lo, s14
	s_xor_b32 s14, s15, -1
	s_delay_alu instid0(SALU_CYCLE_1) | instskip(NEXT) | instid1(SALU_CYCLE_1)
	s_and_saveexec_b32 s15, s14
	s_xor_b32 s14, exec_lo, s15
	s_cbranch_execz .LBB47_12
; %bb.32:                               ;   in Loop: Header=BB47_13 Depth=1
	v_lshl_add_u32 v6, v10, 2, v0
	ds_store_b32 v6, v5
	s_branch .LBB47_12
.LBB47_33:
	s_wait_alu 0xfffe
	s_or_b32 exec_lo, exec_lo, s2
	s_delay_alu instid0(SALU_CYCLE_1)
	s_mov_b32 s3, exec_lo
	s_wait_loadcnt_dscnt 0x0
	global_inv scope:SCOPE_SE
	v_cmpx_lt_i32_e64 v19, v18
	s_cbranch_execz .LBB47_63
; %bb.34:
	v_add_nc_u32_e32 v27, 1, v24
	s_mov_b32 s14, 0
	s_branch .LBB47_37
.LBB47_35:                              ;   in Loop: Header=BB47_37 Depth=1
	s_or_b32 exec_lo, exec_lo, s15
	v_add_nc_u32_e32 v19, 1, v19
	s_delay_alu instid0(VALU_DEP_1)
	v_cmp_ge_i32_e32 vcc_lo, v19, v18
	s_or_not1_b32 s15, vcc_lo, exec_lo
.LBB47_36:                              ;   in Loop: Header=BB47_37 Depth=1
	s_wait_alu 0xfffe
	s_or_b32 exec_lo, exec_lo, s2
	s_delay_alu instid0(SALU_CYCLE_1) | instskip(SKIP_2) | instid1(SALU_CYCLE_1)
	s_and_b32 s2, exec_lo, s15
	s_wait_alu 0xfffe
	s_or_b32 s14, s2, s14
	s_and_not1_b32 exec_lo, exec_lo, s14
	s_cbranch_execz .LBB47_63
.LBB47_37:                              ; =>This Loop Header: Depth=1
                                        ;     Child Loop BB47_38 Depth 2
                                        ;     Child Loop BB47_43 Depth 2
                                        ;       Child Loop BB47_52 Depth 3
	v_ashrrev_i32_e32 v20, 31, v19
	s_mov_b32 s2, 0
	s_delay_alu instid0(VALU_DEP_1) | instskip(SKIP_1) | instid1(VALU_DEP_2)
	v_lshlrev_b64_e32 v[5:6], 2, v[19:20]
	v_lshlrev_b64_e32 v[7:8], 4, v[19:20]
	v_add_co_u32 v5, vcc_lo, s6, v5
	s_wait_alu 0xfffd
	s_delay_alu instid0(VALU_DEP_3) | instskip(NEXT) | instid1(VALU_DEP_3)
	v_add_co_ci_u32_e64 v6, null, s7, v6, vcc_lo
	v_add_co_u32 v20, vcc_lo, s8, v7
	s_wait_alu 0xfffd
	v_add_co_ci_u32_e64 v21, null, s9, v8, vcc_lo
	global_load_b32 v5, v[5:6], off
	s_wait_loadcnt 0x0
	v_subrev_nc_u32_e32 v5, s28, v5
	s_delay_alu instid0(VALU_DEP_1) | instskip(NEXT) | instid1(VALU_DEP_1)
	v_ashrrev_i32_e32 v6, 31, v5
	v_lshlrev_b64_e32 v[9:10], 2, v[5:6]
	s_delay_alu instid0(VALU_DEP_1) | instskip(SKIP_1) | instid1(VALU_DEP_2)
	v_add_co_u32 v11, vcc_lo, s4, v9
	s_wait_alu 0xfffd
	v_add_co_ci_u32_e64 v12, null, s5, v10, vcc_lo
	v_add_co_u32 v22, vcc_lo, s10, v9
	s_wait_alu 0xfffd
	v_add_co_ci_u32_e64 v23, null, s11, v10, vcc_lo
	global_load_b128 v[5:8], v[20:21], off
	global_load_b32 v11, v[11:12], off offset:4
	global_load_b32 v12, v[22:23], off
	v_add_co_u32 v9, vcc_lo, s12, v9
	s_wait_alu 0xfffd
	v_add_co_ci_u32_e64 v10, null, s13, v10, vcc_lo
.LBB47_38:                              ;   Parent Loop BB47_37 Depth=1
                                        ; =>  This Inner Loop Header: Depth=2
	global_load_b32 v22, v[9:10], off scope:SCOPE_DEV
	s_wait_loadcnt 0x0
	v_cmp_ne_u32_e32 vcc_lo, 0, v22
	s_wait_alu 0xfffe
	s_or_b32 s2, vcc_lo, s2
	s_wait_alu 0xfffe
	s_and_not1_b32 exec_lo, exec_lo, s2
	s_cbranch_execnz .LBB47_38
; %bb.39:                               ;   in Loop: Header=BB47_37 Depth=1
	s_or_b32 exec_lo, exec_lo, s2
	v_subrev_nc_u32_e32 v28, s28, v11
	v_cmp_eq_u32_e32 vcc_lo, -1, v12
	global_inv scope:SCOPE_DEV
	s_mov_b32 s15, -1
	v_add_nc_u32_e32 v9, -1, v28
	s_wait_alu 0xfffd
	s_delay_alu instid0(VALU_DEP_1) | instskip(NEXT) | instid1(VALU_DEP_1)
	v_cndmask_b32_e32 v22, v12, v9, vcc_lo
	v_ashrrev_i32_e32 v23, 31, v22
	s_delay_alu instid0(VALU_DEP_1) | instskip(NEXT) | instid1(VALU_DEP_1)
	v_lshlrev_b64_e32 v[9:10], 4, v[22:23]
	v_add_co_u32 v9, vcc_lo, s8, v9
	s_wait_alu 0xfffd
	s_delay_alu instid0(VALU_DEP_2)
	v_add_co_ci_u32_e64 v10, null, s9, v10, vcc_lo
	global_load_b128 v[9:12], v[9:10], off
	s_wait_loadcnt 0x0
	v_cmp_neq_f64_e32 vcc_lo, 0, v[9:10]
	v_cmp_neq_f64_e64 s2, 0, v[11:12]
	s_or_b32 s22, vcc_lo, s2
	s_delay_alu instid0(SALU_CYCLE_1)
	s_and_saveexec_b32 s2, s22
	s_cbranch_execz .LBB47_36
; %bb.40:                               ;   in Loop: Header=BB47_37 Depth=1
	v_mul_f64_e32 v[29:30], v[11:12], v[11:12]
	s_mov_b32 s15, exec_lo
	s_delay_alu instid0(VALU_DEP_1) | instskip(NEXT) | instid1(VALU_DEP_1)
	v_fma_f64 v[29:30], v[9:10], v[9:10], v[29:30]
	v_div_scale_f64 v[31:32], null, v[29:30], v[29:30], 1.0
	v_div_scale_f64 v[37:38], vcc_lo, 1.0, v[29:30], 1.0
	s_delay_alu instid0(VALU_DEP_2) | instskip(NEXT) | instid1(TRANS32_DEP_1)
	v_rcp_f64_e32 v[33:34], v[31:32]
	v_fma_f64 v[35:36], -v[31:32], v[33:34], 1.0
	s_delay_alu instid0(VALU_DEP_1) | instskip(NEXT) | instid1(VALU_DEP_1)
	v_fma_f64 v[33:34], v[33:34], v[35:36], v[33:34]
	v_fma_f64 v[35:36], -v[31:32], v[33:34], 1.0
	s_delay_alu instid0(VALU_DEP_1) | instskip(NEXT) | instid1(VALU_DEP_1)
	v_fma_f64 v[33:34], v[33:34], v[35:36], v[33:34]
	v_mul_f64_e32 v[35:36], v[37:38], v[33:34]
	s_delay_alu instid0(VALU_DEP_1) | instskip(SKIP_3) | instid1(VALU_DEP_3)
	v_fma_f64 v[31:32], -v[31:32], v[35:36], v[37:38]
	v_mul_f64_e32 v[37:38], v[7:8], v[11:12]
	v_mul_f64_e64 v[11:12], v[11:12], -v[5:6]
	s_wait_alu 0xfffd
	v_div_fmas_f64 v[31:32], v[31:32], v[33:34], v[35:36]
	s_delay_alu instid0(VALU_DEP_3) | instskip(NEXT) | instid1(VALU_DEP_3)
	v_fma_f64 v[5:6], v[5:6], v[9:10], v[37:38]
	v_fma_f64 v[7:8], v[7:8], v[9:10], v[11:12]
	v_add_nc_u32_e32 v9, v27, v22
	s_delay_alu instid0(VALU_DEP_4) | instskip(NEXT) | instid1(VALU_DEP_1)
	v_div_fixup_f64 v[29:30], v[31:32], v[29:30], 1.0
	v_mul_f64_e32 v[5:6], v[5:6], v[29:30]
	s_delay_alu instid0(VALU_DEP_4)
	v_mul_f64_e32 v[7:8], v[7:8], v[29:30]
	global_store_b128 v[20:21], v[5:8], off
	v_cmpx_lt_i32_e64 v9, v28
	s_cbranch_execz .LBB47_35
; %bb.41:                               ;   in Loop: Header=BB47_37 Depth=1
	s_mov_b32 s22, 0
	s_branch .LBB47_43
.LBB47_42:                              ;   in Loop: Header=BB47_43 Depth=2
	s_or_b32 exec_lo, exec_lo, s23
	v_add_nc_u32_e32 v9, 64, v9
	s_delay_alu instid0(VALU_DEP_1) | instskip(SKIP_1) | instid1(SALU_CYCLE_1)
	v_cmp_ge_i32_e32 vcc_lo, v9, v28
	s_or_b32 s22, vcc_lo, s22
	s_and_not1_b32 exec_lo, exec_lo, s22
	s_cbranch_execz .LBB47_35
.LBB47_43:                              ;   Parent Loop BB47_37 Depth=1
                                        ; =>  This Loop Header: Depth=2
                                        ;       Child Loop BB47_52 Depth 3
	v_ashrrev_i32_e32 v10, 31, v9
	s_mov_b32 s23, 0
                                        ; implicit-def: $sgpr24
                                        ; implicit-def: $sgpr25
                                        ; implicit-def: $sgpr26
	s_delay_alu instid0(VALU_DEP_1) | instskip(NEXT) | instid1(VALU_DEP_1)
	v_lshlrev_b64_e32 v[11:12], 2, v[9:10]
	v_add_co_u32 v11, vcc_lo, s6, v11
	s_wait_alu 0xfffd
	s_delay_alu instid0(VALU_DEP_2)
	v_add_co_ci_u32_e64 v12, null, s7, v12, vcc_lo
	global_load_b32 v11, v[11:12], off
	v_mov_b32_e32 v12, 0x80
	s_wait_loadcnt 0x0
	v_mul_lo_u32 v21, 0x67, v11
	s_branch .LBB47_52
.LBB47_44:                              ;   in Loop: Header=BB47_52 Depth=3
	s_or_b32 exec_lo, exec_lo, s39
	s_delay_alu instid0(SALU_CYCLE_1)
	s_or_not1_b32 s37, s37, exec_lo
	s_or_not1_b32 s38, s38, exec_lo
.LBB47_45:                              ;   in Loop: Header=BB47_52 Depth=3
	s_or_b32 exec_lo, exec_lo, s36
	s_delay_alu instid0(SALU_CYCLE_1)
	s_and_b32 s37, s37, exec_lo
	s_or_not1_b32 s36, s38, exec_lo
.LBB47_46:                              ;   in Loop: Header=BB47_52 Depth=3
	s_or_b32 exec_lo, exec_lo, s35
	s_delay_alu instid0(SALU_CYCLE_1)
	s_or_not1_b32 s35, s37, exec_lo
	s_or_not1_b32 s36, s36, exec_lo
.LBB47_47:                              ;   in Loop: Header=BB47_52 Depth=3
	s_or_b32 exec_lo, exec_lo, s34
	s_delay_alu instid0(SALU_CYCLE_1)
	s_and_b32 s35, s35, exec_lo
	s_or_not1_b32 s34, s36, exec_lo
.LBB47_48:                              ;   in Loop: Header=BB47_52 Depth=3
	s_or_b32 exec_lo, exec_lo, s33
	s_delay_alu instid0(SALU_CYCLE_1)
	s_or_not1_b32 s33, s35, exec_lo
	s_or_not1_b32 s34, s34, exec_lo
.LBB47_49:                              ;   in Loop: Header=BB47_52 Depth=3
	s_or_b32 exec_lo, exec_lo, s31
	s_delay_alu instid0(SALU_CYCLE_1)
	s_and_b32 s33, s33, exec_lo
	s_or_not1_b32 s31, s34, exec_lo
.LBB47_50:                              ;   in Loop: Header=BB47_52 Depth=3
	s_or_b32 exec_lo, exec_lo, s30
	s_wait_alu 0xfffe
	s_and_not1_b32 s26, s26, exec_lo
	s_and_b32 s30, s33, exec_lo
	s_and_not1_b32 s25, s25, exec_lo
	s_and_b32 s31, s31, exec_lo
	s_wait_alu 0xfffe
	s_or_b32 s26, s26, s30
	s_or_b32 s25, s25, s31
.LBB47_51:                              ;   in Loop: Header=BB47_52 Depth=3
	s_wait_alu 0xfffe
	s_or_b32 exec_lo, exec_lo, s27
	s_delay_alu instid0(SALU_CYCLE_1)
	s_and_b32 s27, exec_lo, s25
	s_wait_alu 0xfffe
	s_or_b32 s23, s27, s23
	s_and_not1_b32 s24, s24, exec_lo
	s_and_b32 s27, s26, exec_lo
	s_wait_alu 0xfffe
	s_or_b32 s24, s24, s27
	s_and_not1_b32 exec_lo, exec_lo, s23
	s_cbranch_execz .LBB47_61
.LBB47_52:                              ;   Parent Loop BB47_37 Depth=1
                                        ;     Parent Loop BB47_43 Depth=2
                                        ; =>    This Inner Loop Header: Depth=3
	s_delay_alu instid0(VALU_DEP_1) | instskip(SKIP_3) | instid1(VALU_DEP_1)
	v_and_b32_e32 v20, 0x7f, v21
	s_or_b32 s26, s26, exec_lo
	s_or_b32 s25, s25, exec_lo
	s_mov_b32 s27, exec_lo
	v_lshl_add_u32 v22, v20, 2, v26
	ds_load_b32 v22, v22
	s_wait_dscnt 0x0
	v_cmpx_ne_u32_e32 -1, v22
	s_cbranch_execz .LBB47_51
; %bb.53:                               ;   in Loop: Header=BB47_52 Depth=3
	s_mov_b32 s31, -1
	s_mov_b32 s33, 0
	s_mov_b32 s30, exec_lo
	v_cmpx_ne_u32_e64 v22, v11
	s_cbranch_execz .LBB47_50
; %bb.54:                               ;   in Loop: Header=BB47_52 Depth=3
	v_add_nc_u32_e32 v20, 1, v21
	s_mov_b32 s34, -1
	s_mov_b32 s33, -1
	s_mov_b32 s31, exec_lo
	s_delay_alu instid0(VALU_DEP_1) | instskip(NEXT) | instid1(VALU_DEP_1)
	v_and_b32_e32 v20, 0x7f, v20
	v_lshl_add_u32 v22, v20, 2, v26
	ds_load_b32 v22, v22
	s_wait_dscnt 0x0
	v_cmpx_ne_u32_e32 -1, v22
	s_cbranch_execz .LBB47_49
; %bb.55:                               ;   in Loop: Header=BB47_52 Depth=3
	s_mov_b32 s35, 0
	s_mov_b32 s33, exec_lo
	v_cmpx_ne_u32_e64 v22, v11
	s_cbranch_execz .LBB47_48
; %bb.56:                               ;   in Loop: Header=BB47_52 Depth=3
	v_add_nc_u32_e32 v20, 2, v21
	s_mov_b32 s36, -1
	s_mov_b32 s35, -1
	s_mov_b32 s34, exec_lo
	s_delay_alu instid0(VALU_DEP_1) | instskip(NEXT) | instid1(VALU_DEP_1)
	v_and_b32_e32 v20, 0x7f, v20
	v_lshl_add_u32 v22, v20, 2, v26
	ds_load_b32 v22, v22
	s_wait_dscnt 0x0
	v_cmpx_ne_u32_e32 -1, v22
	s_cbranch_execz .LBB47_47
; %bb.57:                               ;   in Loop: Header=BB47_52 Depth=3
	s_mov_b32 s37, 0
	s_mov_b32 s35, exec_lo
	v_cmpx_ne_u32_e64 v22, v11
	s_cbranch_execz .LBB47_46
; %bb.58:                               ;   in Loop: Header=BB47_52 Depth=3
	v_add_nc_u32_e32 v20, 3, v21
	s_mov_b32 s38, -1
	s_mov_b32 s37, -1
	s_mov_b32 s36, exec_lo
	s_delay_alu instid0(VALU_DEP_1) | instskip(NEXT) | instid1(VALU_DEP_1)
	v_and_b32_e32 v20, 0x7f, v20
	v_lshl_add_u32 v21, v20, 2, v26
	ds_load_b32 v22, v21
                                        ; implicit-def: $vgpr21
	s_wait_dscnt 0x0
	v_cmpx_ne_u32_e32 -1, v22
	s_cbranch_execz .LBB47_45
; %bb.59:                               ;   in Loop: Header=BB47_52 Depth=3
	s_mov_b32 s37, 0
	s_mov_b32 s39, exec_lo
                                        ; implicit-def: $vgpr21
	v_cmpx_ne_u32_e64 v22, v11
	s_cbranch_execz .LBB47_44
; %bb.60:                               ;   in Loop: Header=BB47_52 Depth=3
	v_add_nc_u32_e32 v12, -4, v12
	v_add_nc_u32_e32 v21, 1, v20
	s_mov_b32 s37, exec_lo
	s_delay_alu instid0(VALU_DEP_2)
	v_cmp_eq_u32_e32 vcc_lo, 0, v12
	s_or_not1_b32 s38, vcc_lo, exec_lo
	s_branch .LBB47_44
.LBB47_61:                              ;   in Loop: Header=BB47_43 Depth=2
	s_or_b32 exec_lo, exec_lo, s23
	s_wait_alu 0xfffe
	s_xor_b32 s23, s24, -1
	s_delay_alu instid0(SALU_CYCLE_1)
	s_and_saveexec_b32 s24, s23
	s_wait_alu 0xfffe
	s_xor_b32 s23, exec_lo, s24
	s_cbranch_execz .LBB47_42
; %bb.62:                               ;   in Loop: Header=BB47_43 Depth=2
	v_lshl_add_u32 v11, v20, 2, v0
	v_lshlrev_b64_e32 v[20:21], 4, v[9:10]
	ds_load_b32 v11, v11
	v_add_co_u32 v20, vcc_lo, s8, v20
	s_wait_alu 0xfffd
	v_add_co_ci_u32_e64 v21, null, s9, v21, vcc_lo
	s_wait_dscnt 0x0
	v_ashrrev_i32_e32 v12, 31, v11
	s_delay_alu instid0(VALU_DEP_1) | instskip(NEXT) | instid1(VALU_DEP_1)
	v_lshlrev_b64_e32 v[10:11], 4, v[11:12]
	v_add_co_u32 v10, vcc_lo, s8, v10
	s_wait_alu 0xfffd
	s_delay_alu instid0(VALU_DEP_2)
	v_add_co_ci_u32_e64 v11, null, s9, v11, vcc_lo
	s_clause 0x1
	global_load_b128 v[20:23], v[20:21], off
	global_load_b128 v[29:32], v[10:11], off
	s_wait_loadcnt 0x0
	v_fma_f64 v[29:30], -v[5:6], v[20:21], v[29:30]
	v_fma_f64 v[31:32], -v[7:8], v[20:21], v[31:32]
	s_delay_alu instid0(VALU_DEP_2) | instskip(NEXT) | instid1(VALU_DEP_2)
	v_fma_f64 v[20:21], v[7:8], v[22:23], v[29:30]
	v_fma_f64 v[22:23], -v[5:6], v[22:23], v[31:32]
	global_store_b128 v[10:11], v[20:23], off
	s_branch .LBB47_42
.LBB47_63:
	s_wait_alu 0xfffe
	s_or_b32 exec_lo, exec_lo, s3
	s_delay_alu instid0(SALU_CYCLE_1)
	s_mov_b32 s3, exec_lo
	s_wait_loadcnt 0x0
	s_wait_storecnt 0x0
	global_inv scope:SCOPE_SE
	v_cmpx_lt_i32_e32 -1, v18
	s_cbranch_execz .LBB47_85
; %bb.64:
	v_mov_b32_e32 v19, 0
	s_mov_b32 s2, exec_lo
	s_delay_alu instid0(VALU_DEP_1) | instskip(NEXT) | instid1(VALU_DEP_1)
	v_lshlrev_b64_e32 v[5:6], 4, v[18:19]
	v_add_co_u32 v9, vcc_lo, s8, v5
	s_wait_alu 0xfffd
	s_delay_alu instid0(VALU_DEP_2)
	v_add_co_ci_u32_e64 v10, null, s9, v6, vcc_lo
	global_load_b128 v[5:8], v[9:10], off
	s_wait_loadcnt 0x0
	v_cmp_gt_f64_e32 vcc_lo, 0, v[5:6]
	v_xor_b32_e32 v0, 0x80000000, v6
	v_xor_b32_e32 v18, 0x80000000, v8
	v_dual_mov_b32 v11, v5 :: v_dual_mov_b32 v20, v7
	s_wait_alu 0xfffd
	s_delay_alu instid0(VALU_DEP_3) | instskip(SKIP_3) | instid1(VALU_DEP_1)
	v_cndmask_b32_e32 v12, v6, v0, vcc_lo
	v_cmp_gt_f64_e32 vcc_lo, 0, v[7:8]
	s_wait_alu 0xfffd
	v_cndmask_b32_e32 v21, v8, v18, vcc_lo
                                        ; implicit-def: $vgpr18_vgpr19
	v_cmpx_ngt_f64_e32 v[11:12], v[20:21]
	s_wait_alu 0xfffe
	s_xor_b32 s2, exec_lo, s2
	s_cbranch_execz .LBB47_68
; %bb.65:
	v_mov_b32_e32 v18, 0
	v_mov_b32_e32 v19, 0
	s_mov_b32 s4, exec_lo
	v_cmpx_neq_f64_e32 0, v[7:8]
	s_cbranch_execz .LBB47_67
; %bb.66:
	v_div_scale_f64 v[18:19], null, v[20:21], v[20:21], v[11:12]
	v_div_scale_f64 v[28:29], vcc_lo, v[11:12], v[20:21], v[11:12]
	s_delay_alu instid0(VALU_DEP_2) | instskip(NEXT) | instid1(TRANS32_DEP_1)
	v_rcp_f64_e32 v[22:23], v[18:19]
	v_fma_f64 v[26:27], -v[18:19], v[22:23], 1.0
	s_delay_alu instid0(VALU_DEP_1) | instskip(NEXT) | instid1(VALU_DEP_1)
	v_fma_f64 v[22:23], v[22:23], v[26:27], v[22:23]
	v_fma_f64 v[26:27], -v[18:19], v[22:23], 1.0
	s_delay_alu instid0(VALU_DEP_1) | instskip(NEXT) | instid1(VALU_DEP_1)
	v_fma_f64 v[22:23], v[22:23], v[26:27], v[22:23]
	v_mul_f64_e32 v[26:27], v[28:29], v[22:23]
	s_delay_alu instid0(VALU_DEP_1) | instskip(SKIP_1) | instid1(VALU_DEP_1)
	v_fma_f64 v[18:19], -v[18:19], v[26:27], v[28:29]
	s_wait_alu 0xfffd
	v_div_fmas_f64 v[18:19], v[18:19], v[22:23], v[26:27]
	s_delay_alu instid0(VALU_DEP_1) | instskip(NEXT) | instid1(VALU_DEP_1)
	v_div_fixup_f64 v[11:12], v[18:19], v[20:21], v[11:12]
	v_fma_f64 v[11:12], v[11:12], v[11:12], 1.0
	s_delay_alu instid0(VALU_DEP_1) | instskip(SKIP_2) | instid1(VALU_DEP_1)
	v_cmp_gt_f64_e32 vcc_lo, 0x10000000, v[11:12]
	s_wait_alu 0xfffd
	v_cndmask_b32_e64 v0, 0, 0x100, vcc_lo
	v_ldexp_f64 v[11:12], v[11:12], v0
	v_cndmask_b32_e64 v0, 0, 0xffffff80, vcc_lo
	s_delay_alu instid0(VALU_DEP_2) | instskip(SKIP_1) | instid1(TRANS32_DEP_1)
	v_rsq_f64_e32 v[18:19], v[11:12]
	v_cmp_class_f64_e64 vcc_lo, v[11:12], 0x260
	v_mul_f64_e32 v[22:23], v[11:12], v[18:19]
	v_mul_f64_e32 v[18:19], 0.5, v[18:19]
	s_delay_alu instid0(VALU_DEP_1) | instskip(NEXT) | instid1(VALU_DEP_1)
	v_fma_f64 v[26:27], -v[18:19], v[22:23], 0.5
	v_fma_f64 v[22:23], v[22:23], v[26:27], v[22:23]
	v_fma_f64 v[18:19], v[18:19], v[26:27], v[18:19]
	s_delay_alu instid0(VALU_DEP_2) | instskip(NEXT) | instid1(VALU_DEP_1)
	v_fma_f64 v[26:27], -v[22:23], v[22:23], v[11:12]
	v_fma_f64 v[22:23], v[26:27], v[18:19], v[22:23]
	s_delay_alu instid0(VALU_DEP_1) | instskip(NEXT) | instid1(VALU_DEP_1)
	v_fma_f64 v[26:27], -v[22:23], v[22:23], v[11:12]
	v_fma_f64 v[18:19], v[26:27], v[18:19], v[22:23]
	s_delay_alu instid0(VALU_DEP_1) | instskip(SKIP_1) | instid1(VALU_DEP_1)
	v_ldexp_f64 v[18:19], v[18:19], v0
	s_wait_alu 0xfffd
	v_dual_cndmask_b32 v12, v19, v12 :: v_dual_cndmask_b32 v11, v18, v11
	s_delay_alu instid0(VALU_DEP_1)
	v_mul_f64_e32 v[18:19], v[20:21], v[11:12]
.LBB47_67:
	s_wait_alu 0xfffe
	s_or_b32 exec_lo, exec_lo, s4
                                        ; implicit-def: $vgpr11_vgpr12
                                        ; implicit-def: $vgpr20_vgpr21
.LBB47_68:
	s_wait_alu 0xfffe
	s_and_not1_saveexec_b32 s2, s2
	s_cbranch_execz .LBB47_70
; %bb.69:
	v_div_scale_f64 v[18:19], null, v[11:12], v[11:12], v[20:21]
	v_div_scale_f64 v[28:29], vcc_lo, v[20:21], v[11:12], v[20:21]
	s_delay_alu instid0(VALU_DEP_2) | instskip(NEXT) | instid1(TRANS32_DEP_1)
	v_rcp_f64_e32 v[22:23], v[18:19]
	v_fma_f64 v[26:27], -v[18:19], v[22:23], 1.0
	s_delay_alu instid0(VALU_DEP_1) | instskip(NEXT) | instid1(VALU_DEP_1)
	v_fma_f64 v[22:23], v[22:23], v[26:27], v[22:23]
	v_fma_f64 v[26:27], -v[18:19], v[22:23], 1.0
	s_delay_alu instid0(VALU_DEP_1) | instskip(NEXT) | instid1(VALU_DEP_1)
	v_fma_f64 v[22:23], v[22:23], v[26:27], v[22:23]
	v_mul_f64_e32 v[26:27], v[28:29], v[22:23]
	s_delay_alu instid0(VALU_DEP_1) | instskip(SKIP_1) | instid1(VALU_DEP_1)
	v_fma_f64 v[18:19], -v[18:19], v[26:27], v[28:29]
	s_wait_alu 0xfffd
	v_div_fmas_f64 v[18:19], v[18:19], v[22:23], v[26:27]
	s_delay_alu instid0(VALU_DEP_1) | instskip(NEXT) | instid1(VALU_DEP_1)
	v_div_fixup_f64 v[18:19], v[18:19], v[11:12], v[20:21]
	v_fma_f64 v[18:19], v[18:19], v[18:19], 1.0
	s_delay_alu instid0(VALU_DEP_1) | instskip(SKIP_2) | instid1(VALU_DEP_1)
	v_cmp_gt_f64_e32 vcc_lo, 0x10000000, v[18:19]
	s_wait_alu 0xfffd
	v_cndmask_b32_e64 v0, 0, 0x100, vcc_lo
	v_ldexp_f64 v[18:19], v[18:19], v0
	v_cndmask_b32_e64 v0, 0, 0xffffff80, vcc_lo
	s_delay_alu instid0(VALU_DEP_2) | instskip(SKIP_1) | instid1(TRANS32_DEP_1)
	v_rsq_f64_e32 v[20:21], v[18:19]
	v_cmp_class_f64_e64 vcc_lo, v[18:19], 0x260
	v_mul_f64_e32 v[22:23], v[18:19], v[20:21]
	v_mul_f64_e32 v[20:21], 0.5, v[20:21]
	s_delay_alu instid0(VALU_DEP_1) | instskip(NEXT) | instid1(VALU_DEP_1)
	v_fma_f64 v[26:27], -v[20:21], v[22:23], 0.5
	v_fma_f64 v[22:23], v[22:23], v[26:27], v[22:23]
	v_fma_f64 v[20:21], v[20:21], v[26:27], v[20:21]
	s_delay_alu instid0(VALU_DEP_2) | instskip(NEXT) | instid1(VALU_DEP_1)
	v_fma_f64 v[26:27], -v[22:23], v[22:23], v[18:19]
	v_fma_f64 v[22:23], v[26:27], v[20:21], v[22:23]
	s_delay_alu instid0(VALU_DEP_1) | instskip(NEXT) | instid1(VALU_DEP_1)
	v_fma_f64 v[26:27], -v[22:23], v[22:23], v[18:19]
	v_fma_f64 v[20:21], v[26:27], v[20:21], v[22:23]
	s_delay_alu instid0(VALU_DEP_1) | instskip(SKIP_1) | instid1(VALU_DEP_1)
	v_ldexp_f64 v[20:21], v[20:21], v0
	s_wait_alu 0xfffd
	v_dual_cndmask_b32 v19, v21, v19 :: v_dual_cndmask_b32 v18, v20, v18
	s_delay_alu instid0(VALU_DEP_1)
	v_mul_f64_e32 v[18:19], v[11:12], v[18:19]
.LBB47_70:
	s_wait_alu 0xfffe
	s_or_b32 exec_lo, exec_lo, s2
	v_cmp_ne_u32_e32 vcc_lo, 1, v25
	v_cmp_eq_u32_e64 s2, 0, v24
	s_mov_b32 s4, -1
	s_cbranch_vccnz .LBB47_74
; %bb.71:
	v_cvt_f64_f32_e32 v[11:12], s29
	s_cmp_eq_u64 s[20:21], 8
	s_cselect_b32 vcc_lo, -1, 0
	s_wait_alu 0xfffe
	s_delay_alu instid0(VALU_DEP_1) | instskip(NEXT) | instid1(VALU_DEP_1)
	v_dual_cndmask_b32 v12, v12, v16 :: v_dual_cndmask_b32 v11, v11, v15
	v_cmp_le_f64_e32 vcc_lo, v[18:19], v[11:12]
	s_and_b32 s5, s2, vcc_lo
	s_wait_alu 0xfffe
	s_and_saveexec_b32 s4, s5
	s_cbranch_execz .LBB47_73
; %bb.72:
	global_store_b128 v[9:10], v[1:4], off
	s_wait_storecnt 0x0
	global_inv scope:SCOPE_DEV
.LBB47_73:
	s_wait_alu 0xfffe
	s_or_b32 exec_lo, exec_lo, s4
	s_mov_b32 s4, 0
.LBB47_74:
	s_wait_alu 0xfffe
	s_and_not1_b32 vcc_lo, exec_lo, s4
	s_wait_alu 0xfffe
	s_cbranch_vccnz .LBB47_85
; %bb.75:
	s_load_b64 s[0:1], s[0:1], 0x48
	v_add_nc_u32_e32 v0, s28, v17
	s_wait_kmcnt 0x0
	v_cmp_ge_f64_e32 vcc_lo, s[0:1], v[18:19]
	s_and_b32 s1, s2, vcc_lo
	s_wait_alu 0xfffe
	s_and_saveexec_b32 s0, s1
	s_cbranch_execz .LBB47_80
; %bb.76:
	s_mov_b32 s4, exec_lo
	s_brev_b32 s1, -2
.LBB47_77:                              ; =>This Inner Loop Header: Depth=1
	s_wait_alu 0xfffe
	s_ctz_i32_b32 s5, s4
	s_wait_alu 0xfffe
	v_readlane_b32 s6, v0, s5
	s_lshl_b32 s5, 1, s5
	s_wait_alu 0xfffe
	s_and_not1_b32 s4, s4, s5
	s_min_i32 s1, s1, s6
	s_wait_alu 0xfffe
	s_cmp_lg_u32 s4, 0
	s_cbranch_scc1 .LBB47_77
; %bb.78:
	v_mbcnt_lo_u32_b32 v1, exec_lo, 0
	s_mov_b32 s4, exec_lo
	s_delay_alu instid0(VALU_DEP_1)
	v_cmpx_eq_u32_e32 0, v1
	s_wait_alu 0xfffe
	s_xor_b32 s4, exec_lo, s4
	s_cbranch_execz .LBB47_80
; %bb.79:
	v_dual_mov_b32 v1, 0 :: v_dual_mov_b32 v2, s1
	global_atomic_min_i32 v1, v2, s[18:19] scope:SCOPE_DEV
.LBB47_80:
	s_wait_alu 0xfffe
	s_or_b32 exec_lo, exec_lo, s0
	v_cmp_eq_f64_e32 vcc_lo, 0, v[5:6]
	v_cmp_eq_f64_e64 s0, 0, v[7:8]
	s_and_b32 s0, vcc_lo, s0
	s_wait_alu 0xfffe
	s_and_b32 s0, s2, s0
	s_wait_alu 0xfffe
	s_and_b32 exec_lo, exec_lo, s0
	s_cbranch_execz .LBB47_85
; %bb.81:
	s_mov_b32 s1, exec_lo
	s_brev_b32 s0, -2
.LBB47_82:                              ; =>This Inner Loop Header: Depth=1
	s_wait_alu 0xfffe
	s_ctz_i32_b32 s2, s1
	s_wait_alu 0xfffe
	v_readlane_b32 s4, v0, s2
	s_lshl_b32 s2, 1, s2
	s_wait_alu 0xfffe
	s_and_not1_b32 s1, s1, s2
	s_min_i32 s0, s0, s4
	s_wait_alu 0xfffe
	s_cmp_lg_u32 s1, 0
	s_cbranch_scc1 .LBB47_82
; %bb.83:
	v_mbcnt_lo_u32_b32 v0, exec_lo, 0
	s_mov_b32 s1, exec_lo
	s_delay_alu instid0(VALU_DEP_1)
	v_cmpx_eq_u32_e32 0, v0
	s_wait_alu 0xfffe
	s_xor_b32 s1, exec_lo, s1
	s_cbranch_execz .LBB47_85
; %bb.84:
	v_dual_mov_b32 v0, 0 :: v_dual_mov_b32 v1, s0
	global_atomic_min_i32 v0, v1, s[16:17] scope:SCOPE_DEV
.LBB47_85:
	s_wait_alu 0xfffe
	s_or_b32 exec_lo, exec_lo, s3
	v_cmp_eq_u32_e32 vcc_lo, 0, v24
	s_wait_loadcnt 0x0
	s_wait_storecnt 0x0
	global_inv scope:SCOPE_DEV
	s_and_b32 exec_lo, exec_lo, vcc_lo
	s_cbranch_execz .LBB47_87
; %bb.86:
	v_add_co_u32 v0, vcc_lo, s12, v13
	s_wait_alu 0xfffd
	v_add_co_ci_u32_e64 v1, null, s13, v14, vcc_lo
	v_mov_b32_e32 v2, 1
	s_wait_loadcnt 0x0
	global_store_b32 v[0:1], v2, off scope:SCOPE_DEV
.LBB47_87:
	s_endpgm
	.section	.rodata,"a",@progbits
	.p2align	6, 0x0
	.amdhsa_kernel _ZN9rocsparseL12csrilu0_hashILj256ELj64ELj2E21rocsparse_complex_numIdEEEviPKiS4_PT2_S4_PiS4_S7_S7_d21rocsparse_index_base_imNS_24const_host_device_scalarIfEENS9_IdEENS9_IS5_EEb
		.amdhsa_group_segment_fixed_size 4096
		.amdhsa_private_segment_fixed_size 16
		.amdhsa_kernarg_size 132
		.amdhsa_user_sgpr_count 2
		.amdhsa_user_sgpr_dispatch_ptr 0
		.amdhsa_user_sgpr_queue_ptr 0
		.amdhsa_user_sgpr_kernarg_segment_ptr 1
		.amdhsa_user_sgpr_dispatch_id 0
		.amdhsa_user_sgpr_private_segment_size 0
		.amdhsa_wavefront_size32 1
		.amdhsa_uses_dynamic_stack 0
		.amdhsa_enable_private_segment 1
		.amdhsa_system_sgpr_workgroup_id_x 1
		.amdhsa_system_sgpr_workgroup_id_y 0
		.amdhsa_system_sgpr_workgroup_id_z 0
		.amdhsa_system_sgpr_workgroup_info 0
		.amdhsa_system_vgpr_workitem_id 0
		.amdhsa_next_free_vgpr 39
		.amdhsa_next_free_sgpr 40
		.amdhsa_reserve_vcc 1
		.amdhsa_float_round_mode_32 0
		.amdhsa_float_round_mode_16_64 0
		.amdhsa_float_denorm_mode_32 3
		.amdhsa_float_denorm_mode_16_64 3
		.amdhsa_fp16_overflow 0
		.amdhsa_workgroup_processor_mode 1
		.amdhsa_memory_ordered 1
		.amdhsa_forward_progress 1
		.amdhsa_inst_pref_size 33
		.amdhsa_round_robin_scheduling 0
		.amdhsa_exception_fp_ieee_invalid_op 0
		.amdhsa_exception_fp_denorm_src 0
		.amdhsa_exception_fp_ieee_div_zero 0
		.amdhsa_exception_fp_ieee_overflow 0
		.amdhsa_exception_fp_ieee_underflow 0
		.amdhsa_exception_fp_ieee_inexact 0
		.amdhsa_exception_int_div_zero 0
	.end_amdhsa_kernel
	.section	.text._ZN9rocsparseL12csrilu0_hashILj256ELj64ELj2E21rocsparse_complex_numIdEEEviPKiS4_PT2_S4_PiS4_S7_S7_d21rocsparse_index_base_imNS_24const_host_device_scalarIfEENS9_IdEENS9_IS5_EEb,"axG",@progbits,_ZN9rocsparseL12csrilu0_hashILj256ELj64ELj2E21rocsparse_complex_numIdEEEviPKiS4_PT2_S4_PiS4_S7_S7_d21rocsparse_index_base_imNS_24const_host_device_scalarIfEENS9_IdEENS9_IS5_EEb,comdat
.Lfunc_end47:
	.size	_ZN9rocsparseL12csrilu0_hashILj256ELj64ELj2E21rocsparse_complex_numIdEEEviPKiS4_PT2_S4_PiS4_S7_S7_d21rocsparse_index_base_imNS_24const_host_device_scalarIfEENS9_IdEENS9_IS5_EEb, .Lfunc_end47-_ZN9rocsparseL12csrilu0_hashILj256ELj64ELj2E21rocsparse_complex_numIdEEEviPKiS4_PT2_S4_PiS4_S7_S7_d21rocsparse_index_base_imNS_24const_host_device_scalarIfEENS9_IdEENS9_IS5_EEb
                                        ; -- End function
	.set _ZN9rocsparseL12csrilu0_hashILj256ELj64ELj2E21rocsparse_complex_numIdEEEviPKiS4_PT2_S4_PiS4_S7_S7_d21rocsparse_index_base_imNS_24const_host_device_scalarIfEENS9_IdEENS9_IS5_EEb.num_vgpr, 39
	.set _ZN9rocsparseL12csrilu0_hashILj256ELj64ELj2E21rocsparse_complex_numIdEEEviPKiS4_PT2_S4_PiS4_S7_S7_d21rocsparse_index_base_imNS_24const_host_device_scalarIfEENS9_IdEENS9_IS5_EEb.num_agpr, 0
	.set _ZN9rocsparseL12csrilu0_hashILj256ELj64ELj2E21rocsparse_complex_numIdEEEviPKiS4_PT2_S4_PiS4_S7_S7_d21rocsparse_index_base_imNS_24const_host_device_scalarIfEENS9_IdEENS9_IS5_EEb.numbered_sgpr, 40
	.set _ZN9rocsparseL12csrilu0_hashILj256ELj64ELj2E21rocsparse_complex_numIdEEEviPKiS4_PT2_S4_PiS4_S7_S7_d21rocsparse_index_base_imNS_24const_host_device_scalarIfEENS9_IdEENS9_IS5_EEb.num_named_barrier, 0
	.set _ZN9rocsparseL12csrilu0_hashILj256ELj64ELj2E21rocsparse_complex_numIdEEEviPKiS4_PT2_S4_PiS4_S7_S7_d21rocsparse_index_base_imNS_24const_host_device_scalarIfEENS9_IdEENS9_IS5_EEb.private_seg_size, 16
	.set _ZN9rocsparseL12csrilu0_hashILj256ELj64ELj2E21rocsparse_complex_numIdEEEviPKiS4_PT2_S4_PiS4_S7_S7_d21rocsparse_index_base_imNS_24const_host_device_scalarIfEENS9_IdEENS9_IS5_EEb.uses_vcc, 1
	.set _ZN9rocsparseL12csrilu0_hashILj256ELj64ELj2E21rocsparse_complex_numIdEEEviPKiS4_PT2_S4_PiS4_S7_S7_d21rocsparse_index_base_imNS_24const_host_device_scalarIfEENS9_IdEENS9_IS5_EEb.uses_flat_scratch, 0
	.set _ZN9rocsparseL12csrilu0_hashILj256ELj64ELj2E21rocsparse_complex_numIdEEEviPKiS4_PT2_S4_PiS4_S7_S7_d21rocsparse_index_base_imNS_24const_host_device_scalarIfEENS9_IdEENS9_IS5_EEb.has_dyn_sized_stack, 0
	.set _ZN9rocsparseL12csrilu0_hashILj256ELj64ELj2E21rocsparse_complex_numIdEEEviPKiS4_PT2_S4_PiS4_S7_S7_d21rocsparse_index_base_imNS_24const_host_device_scalarIfEENS9_IdEENS9_IS5_EEb.has_recursion, 0
	.set _ZN9rocsparseL12csrilu0_hashILj256ELj64ELj2E21rocsparse_complex_numIdEEEviPKiS4_PT2_S4_PiS4_S7_S7_d21rocsparse_index_base_imNS_24const_host_device_scalarIfEENS9_IdEENS9_IS5_EEb.has_indirect_call, 0
	.section	.AMDGPU.csdata,"",@progbits
; Kernel info:
; codeLenInByte = 4148
; TotalNumSgprs: 42
; NumVgprs: 39
; ScratchSize: 16
; MemoryBound: 0
; FloatMode: 240
; IeeeMode: 1
; LDSByteSize: 4096 bytes/workgroup (compile time only)
; SGPRBlocks: 0
; VGPRBlocks: 4
; NumSGPRsForWavesPerEU: 42
; NumVGPRsForWavesPerEU: 39
; Occupancy: 16
; WaveLimiterHint : 1
; COMPUTE_PGM_RSRC2:SCRATCH_EN: 1
; COMPUTE_PGM_RSRC2:USER_SGPR: 2
; COMPUTE_PGM_RSRC2:TRAP_HANDLER: 0
; COMPUTE_PGM_RSRC2:TGID_X_EN: 1
; COMPUTE_PGM_RSRC2:TGID_Y_EN: 0
; COMPUTE_PGM_RSRC2:TGID_Z_EN: 0
; COMPUTE_PGM_RSRC2:TIDIG_COMP_CNT: 0
	.section	.text._ZN9rocsparseL12csrilu0_hashILj256ELj64ELj4E21rocsparse_complex_numIdEEEviPKiS4_PT2_S4_PiS4_S7_S7_d21rocsparse_index_base_imNS_24const_host_device_scalarIfEENS9_IdEENS9_IS5_EEb,"axG",@progbits,_ZN9rocsparseL12csrilu0_hashILj256ELj64ELj4E21rocsparse_complex_numIdEEEviPKiS4_PT2_S4_PiS4_S7_S7_d21rocsparse_index_base_imNS_24const_host_device_scalarIfEENS9_IdEENS9_IS5_EEb,comdat
	.globl	_ZN9rocsparseL12csrilu0_hashILj256ELj64ELj4E21rocsparse_complex_numIdEEEviPKiS4_PT2_S4_PiS4_S7_S7_d21rocsparse_index_base_imNS_24const_host_device_scalarIfEENS9_IdEENS9_IS5_EEb ; -- Begin function _ZN9rocsparseL12csrilu0_hashILj256ELj64ELj4E21rocsparse_complex_numIdEEEviPKiS4_PT2_S4_PiS4_S7_S7_d21rocsparse_index_base_imNS_24const_host_device_scalarIfEENS9_IdEENS9_IS5_EEb
	.p2align	8
	.type	_ZN9rocsparseL12csrilu0_hashILj256ELj64ELj4E21rocsparse_complex_numIdEEEviPKiS4_PT2_S4_PiS4_S7_S7_d21rocsparse_index_base_imNS_24const_host_device_scalarIfEENS9_IdEENS9_IS5_EEb,@function
_ZN9rocsparseL12csrilu0_hashILj256ELj64ELj4E21rocsparse_complex_numIdEEEviPKiS4_PT2_S4_PiS4_S7_S7_d21rocsparse_index_base_imNS_24const_host_device_scalarIfEENS9_IdEENS9_IS5_EEb: ; @_ZN9rocsparseL12csrilu0_hashILj256ELj64ELj4E21rocsparse_complex_numIdEEEviPKiS4_PT2_S4_PiS4_S7_S7_d21rocsparse_index_base_imNS_24const_host_device_scalarIfEENS9_IdEENS9_IS5_EEb
; %bb.0:
	s_clause 0x2
	s_load_b96 s[4:6], s[0:1], 0x78
	s_load_b64 s[28:29], s[0:1], 0x50
	s_load_b256 s[20:27], s[0:1], 0x58
	s_wait_kmcnt 0x0
	s_bitcmp1_b32 s6, 0
	s_cselect_b32 s6, -1, 0
	s_cmp_eq_u32 s29, 0
	v_dual_mov_b32 v1, s26 :: v_dual_mov_b32 v2, s27
	s_cselect_b32 s2, -1, 0
	s_cmp_lg_u32 s29, 0
	s_cselect_b32 s7, -1, 0
	s_or_b32 s9, s2, s6
	scratch_store_b64 off, v[1:2], off
	s_xor_b32 s8, s9, -1
	s_and_b32 s2, s2, exec_lo
	s_cselect_b32 s3, 0, s25
	s_cselect_b32 s2, 0, s24
	;; [unrolled: 1-line block ×3, first 2 shown]
	s_and_b32 vcc_lo, exec_lo, s9
	s_cbranch_vccnz .LBB48_2
; %bb.1:
	s_load_b32 s29, s[22:23], 0x0
	s_mov_b64 s[2:3], s[24:25]
.LBB48_2:
	s_delay_alu instid0(SALU_CYCLE_1)
	v_dual_mov_b32 v16, s3 :: v_dual_mov_b32 v15, s2
	s_and_not1_b32 vcc_lo, exec_lo, s8
	s_cbranch_vccnz .LBB48_4
; %bb.3:
	v_dual_mov_b32 v1, s24 :: v_dual_mov_b32 v2, s25
	flat_load_b64 v[15:16], v[1:2]
.LBB48_4:
	v_mov_b32_e32 v3, 0
	v_dual_mov_b32 v4, 0 :: v_dual_mov_b32 v1, 0
	v_cndmask_b32_e64 v25, 0, 1, s7
	v_mov_b32_e32 v2, 0
	s_and_not1_b32 vcc_lo, exec_lo, s7
	s_cbranch_vccnz .LBB48_7
; %bb.5:
	s_mov_b64 s[2:3], src_private_base
	s_xor_b32 s2, s6, -1
	s_and_b32 s6, s6, exec_lo
	s_cselect_b32 s6, 0, s26
	s_wait_alu 0xfffe
	s_cselect_b32 s3, s3, s27
	s_wait_alu 0xfffe
	v_dual_mov_b32 v1, s6 :: v_dual_mov_b32 v2, s3
	v_dual_mov_b32 v3, s4 :: v_dual_mov_b32 v4, s5
	s_and_not1_b32 vcc_lo, exec_lo, s2
	flat_load_b64 v[1:2], v[1:2]
	s_cbranch_vccnz .LBB48_7
; %bb.6:
	v_dual_mov_b32 v3, s26 :: v_dual_mov_b32 v4, s27
	flat_load_b64 v[3:4], v[3:4] offset:8
.LBB48_7:
	v_lshrrev_b32_e32 v5, 6, v0
	v_and_b32_e32 v24, 63, v0
	s_mov_b32 s2, 0
	s_delay_alu instid0(VALU_DEP_2) | instskip(NEXT) | instid1(VALU_DEP_2)
	v_lshlrev_b32_e32 v7, 10, v5
	v_lshlrev_b32_e32 v8, 2, v24
	v_or_b32_e32 v6, 0xffffffc0, v24
	s_delay_alu instid0(VALU_DEP_2)
	v_or3_b32 v7, v7, v8, 0x1000
	v_mov_b32_e32 v8, -1
.LBB48_8:                               ; =>This Inner Loop Header: Depth=1
	s_delay_alu instid0(VALU_DEP_3)
	v_add_nc_u32_e32 v6, 64, v6
	ds_store_b32 v7, v8
	v_add_nc_u32_e32 v7, 0x100, v7
	v_cmp_lt_u32_e32 vcc_lo, 0xbf, v6
	s_wait_alu 0xfffe
	s_or_b32 s2, vcc_lo, s2
	s_wait_alu 0xfffe
	s_and_not1_b32 exec_lo, exec_lo, s2
	s_cbranch_execnz .LBB48_8
; %bb.9:
	s_or_b32 exec_lo, exec_lo, s2
	s_load_b32 s2, s[0:1], 0x0
	s_lshl_b32 s3, ttmp9, 2
	s_wait_storecnt 0x0
	s_wait_loadcnt_dscnt 0x0
	global_inv scope:SCOPE_SE
	s_wait_alu 0xfffe
	v_and_or_b32 v5, 0x3fffffc, s3, v5
	s_wait_kmcnt 0x0
	s_delay_alu instid0(VALU_DEP_1)
	v_cmp_gt_i32_e32 vcc_lo, s2, v5
	s_and_saveexec_b32 s2, vcc_lo
	s_cbranch_execz .LBB48_87
; %bb.10:
	s_load_b512 s[4:19], s[0:1], 0x8
	v_lshlrev_b32_e32 v5, 2, v5
	v_lshlrev_b32_e32 v0, 4, v0
	s_mov_b32 s2, exec_lo
	s_delay_alu instid0(VALU_DEP_1) | instskip(NEXT) | instid1(VALU_DEP_1)
	v_and_b32_e32 v0, 0xc00, v0
	v_or_b32_e32 v26, 0x1000, v0
	s_wait_kmcnt 0x0
	global_load_b32 v17, v5, s[14:15]
	s_wait_loadcnt 0x0
	v_ashrrev_i32_e32 v18, 31, v17
	s_delay_alu instid0(VALU_DEP_1) | instskip(NEXT) | instid1(VALU_DEP_1)
	v_lshlrev_b64_e32 v[13:14], 2, v[17:18]
	v_add_co_u32 v5, vcc_lo, s4, v13
	s_delay_alu instid0(VALU_DEP_1)
	v_add_co_ci_u32_e64 v6, null, s5, v14, vcc_lo
	v_add_co_u32 v7, vcc_lo, s10, v13
	s_wait_alu 0xfffd
	v_add_co_ci_u32_e64 v8, null, s11, v14, vcc_lo
	global_load_b64 v[5:6], v[5:6], off
	global_load_b32 v18, v[7:8], off
	s_wait_loadcnt 0x1
	v_subrev_nc_u32_e32 v19, s28, v5
	v_subrev_nc_u32_e32 v7, s28, v6
	s_delay_alu instid0(VALU_DEP_2) | instskip(NEXT) | instid1(VALU_DEP_1)
	v_add_nc_u32_e32 v5, v19, v24
	v_cmpx_lt_i32_e64 v5, v7
	s_cbranch_execz .LBB48_33
; %bb.11:
	v_mov_b32_e32 v8, -1
	s_mov_b32 s3, 0
	s_branch .LBB48_13
.LBB48_12:                              ;   in Loop: Header=BB48_13 Depth=1
	s_or_b32 exec_lo, exec_lo, s14
	v_add_nc_u32_e32 v5, 64, v5
	s_delay_alu instid0(VALU_DEP_1)
	v_cmp_ge_i32_e32 vcc_lo, v5, v7
	s_or_b32 s3, vcc_lo, s3
	s_wait_alu 0xfffe
	s_and_not1_b32 exec_lo, exec_lo, s3
	s_cbranch_execz .LBB48_33
.LBB48_13:                              ; =>This Loop Header: Depth=1
                                        ;     Child Loop BB48_22 Depth 2
	v_ashrrev_i32_e32 v6, 31, v5
	s_mov_b32 s14, 0
                                        ; implicit-def: $sgpr15
                                        ; implicit-def: $sgpr22
                                        ; implicit-def: $sgpr23
	s_delay_alu instid0(VALU_DEP_1) | instskip(NEXT) | instid1(VALU_DEP_1)
	v_lshlrev_b64_e32 v[9:10], 2, v[5:6]
	v_add_co_u32 v9, vcc_lo, s6, v9
	s_wait_alu 0xfffd
	s_delay_alu instid0(VALU_DEP_2)
	v_add_co_ci_u32_e64 v10, null, s7, v10, vcc_lo
	global_load_b32 v6, v[9:10], off
	v_mov_b32_e32 v9, 0x100
	s_wait_loadcnt 0x0
	v_mul_lo_u32 v11, 0x67, v6
	s_branch .LBB48_22
.LBB48_14:                              ;   in Loop: Header=BB48_22 Depth=2
	s_or_b32 exec_lo, exec_lo, s36
	s_delay_alu instid0(SALU_CYCLE_1)
	s_or_not1_b32 s34, s34, exec_lo
	s_or_not1_b32 s35, s35, exec_lo
.LBB48_15:                              ;   in Loop: Header=BB48_22 Depth=2
	s_or_b32 exec_lo, exec_lo, s33
	s_delay_alu instid0(SALU_CYCLE_1)
	s_and_b32 s34, s34, exec_lo
	s_or_not1_b32 s33, s35, exec_lo
.LBB48_16:                              ;   in Loop: Header=BB48_22 Depth=2
	s_or_b32 exec_lo, exec_lo, s31
	s_delay_alu instid0(SALU_CYCLE_1)
	s_or_not1_b32 s31, s34, exec_lo
	s_or_not1_b32 s33, s33, exec_lo
.LBB48_17:                              ;   in Loop: Header=BB48_22 Depth=2
	s_or_b32 exec_lo, exec_lo, s30
	s_delay_alu instid0(SALU_CYCLE_1)
	s_and_b32 s31, s31, exec_lo
	s_or_not1_b32 s30, s33, exec_lo
.LBB48_18:                              ;   in Loop: Header=BB48_22 Depth=2
	s_wait_alu 0xfffe
	s_or_b32 exec_lo, exec_lo, s27
	s_delay_alu instid0(SALU_CYCLE_1)
	s_or_not1_b32 s27, s31, exec_lo
	s_or_not1_b32 s30, s30, exec_lo
.LBB48_19:                              ;   in Loop: Header=BB48_22 Depth=2
	s_wait_alu 0xfffe
	s_or_b32 exec_lo, exec_lo, s26
	s_delay_alu instid0(SALU_CYCLE_1)
	s_and_b32 s27, s27, exec_lo
	s_or_not1_b32 s26, s30, exec_lo
.LBB48_20:                              ;   in Loop: Header=BB48_22 Depth=2
	s_wait_alu 0xfffe
	s_or_b32 exec_lo, exec_lo, s25
	s_delay_alu instid0(SALU_CYCLE_1)
	s_and_not1_b32 s23, s23, exec_lo
	s_and_b32 s25, s27, exec_lo
	s_and_not1_b32 s22, s22, exec_lo
	s_and_b32 s26, s26, exec_lo
	s_wait_alu 0xfffe
	s_or_b32 s23, s23, s25
	s_or_b32 s22, s22, s26
.LBB48_21:                              ;   in Loop: Header=BB48_22 Depth=2
	s_wait_alu 0xfffe
	s_or_b32 exec_lo, exec_lo, s24
	s_delay_alu instid0(SALU_CYCLE_1)
	s_and_b32 s24, exec_lo, s22
	s_wait_alu 0xfffe
	s_or_b32 s14, s24, s14
	s_and_not1_b32 s15, s15, exec_lo
	s_and_b32 s24, s23, exec_lo
	s_wait_alu 0xfffe
	s_or_b32 s15, s15, s24
	s_and_not1_b32 exec_lo, exec_lo, s14
	s_cbranch_execz .LBB48_31
.LBB48_22:                              ;   Parent Loop BB48_13 Depth=1
                                        ; =>  This Inner Loop Header: Depth=2
	s_delay_alu instid0(VALU_DEP_1) | instskip(SKIP_3) | instid1(VALU_DEP_1)
	v_and_b32_e32 v10, 0xff, v11
	s_or_b32 s23, s23, exec_lo
	s_or_b32 s22, s22, exec_lo
	s_mov_b32 s24, exec_lo
	v_lshl_add_u32 v12, v10, 2, v26
	ds_load_b32 v20, v12
	s_wait_dscnt 0x0
	v_cmpx_ne_u32_e64 v20, v6
	s_cbranch_execz .LBB48_21
; %bb.23:                               ;   in Loop: Header=BB48_22 Depth=2
	ds_cmpstore_rtn_b32 v12, v12, v6, v8
	s_mov_b32 s26, -1
	s_mov_b32 s27, 0
	s_mov_b32 s25, exec_lo
	s_wait_dscnt 0x0
	v_cmpx_ne_u32_e32 -1, v12
	s_cbranch_execz .LBB48_20
; %bb.24:                               ;   in Loop: Header=BB48_22 Depth=2
	v_add_nc_u32_e32 v10, 1, v11
	s_mov_b32 s30, -1
	s_mov_b32 s27, -1
	s_mov_b32 s26, exec_lo
	s_delay_alu instid0(VALU_DEP_1) | instskip(NEXT) | instid1(VALU_DEP_1)
	v_and_b32_e32 v10, 0xff, v10
	v_lshl_add_u32 v12, v10, 2, v26
	ds_load_b32 v20, v12
	s_wait_dscnt 0x0
	v_cmpx_ne_u32_e64 v20, v6
	s_cbranch_execz .LBB48_19
; %bb.25:                               ;   in Loop: Header=BB48_22 Depth=2
	ds_cmpstore_rtn_b32 v12, v12, v6, v8
	s_mov_b32 s31, 0
	s_mov_b32 s27, exec_lo
	s_wait_dscnt 0x0
	v_cmpx_ne_u32_e32 -1, v12
	s_cbranch_execz .LBB48_18
; %bb.26:                               ;   in Loop: Header=BB48_22 Depth=2
	v_add_nc_u32_e32 v10, 2, v11
	s_mov_b32 s33, -1
	s_mov_b32 s31, -1
	s_mov_b32 s30, exec_lo
	s_delay_alu instid0(VALU_DEP_1) | instskip(NEXT) | instid1(VALU_DEP_1)
	v_and_b32_e32 v10, 0xff, v10
	v_lshl_add_u32 v12, v10, 2, v26
	ds_load_b32 v20, v12
	s_wait_dscnt 0x0
	v_cmpx_ne_u32_e64 v20, v6
	s_cbranch_execz .LBB48_17
; %bb.27:                               ;   in Loop: Header=BB48_22 Depth=2
	ds_cmpstore_rtn_b32 v12, v12, v6, v8
	s_mov_b32 s34, 0
	s_mov_b32 s31, exec_lo
	s_wait_dscnt 0x0
	v_cmpx_ne_u32_e32 -1, v12
	s_cbranch_execz .LBB48_16
; %bb.28:                               ;   in Loop: Header=BB48_22 Depth=2
	v_add_nc_u32_e32 v10, 3, v11
	s_mov_b32 s35, -1
	s_mov_b32 s34, -1
	s_delay_alu instid0(VALU_DEP_1) | instskip(NEXT) | instid1(VALU_DEP_1)
	v_and_b32_e32 v10, 0xff, v10
	v_lshl_add_u32 v12, v10, 2, v26
	ds_load_b32 v11, v12
	s_wait_dscnt 0x0
	v_cmp_ne_u32_e32 vcc_lo, v11, v6
                                        ; implicit-def: $vgpr11
	s_and_saveexec_b32 s33, vcc_lo
	s_cbranch_execz .LBB48_15
; %bb.29:                               ;   in Loop: Header=BB48_22 Depth=2
	ds_cmpstore_rtn_b32 v11, v12, v6, v8
	s_mov_b32 s34, 0
	s_wait_dscnt 0x0
	v_cmp_ne_u32_e32 vcc_lo, -1, v11
                                        ; implicit-def: $vgpr11
	s_and_saveexec_b32 s36, vcc_lo
	s_cbranch_execz .LBB48_14
; %bb.30:                               ;   in Loop: Header=BB48_22 Depth=2
	v_add_nc_u32_e32 v9, -4, v9
	v_add_nc_u32_e32 v11, 1, v10
	s_mov_b32 s34, exec_lo
	s_delay_alu instid0(VALU_DEP_2)
	v_cmp_eq_u32_e32 vcc_lo, 0, v9
	s_or_not1_b32 s35, vcc_lo, exec_lo
	s_branch .LBB48_14
.LBB48_31:                              ;   in Loop: Header=BB48_13 Depth=1
	s_or_b32 exec_lo, exec_lo, s14
	s_xor_b32 s14, s15, -1
	s_delay_alu instid0(SALU_CYCLE_1) | instskip(NEXT) | instid1(SALU_CYCLE_1)
	s_and_saveexec_b32 s15, s14
	s_xor_b32 s14, exec_lo, s15
	s_cbranch_execz .LBB48_12
; %bb.32:                               ;   in Loop: Header=BB48_13 Depth=1
	v_lshl_add_u32 v6, v10, 2, v0
	ds_store_b32 v6, v5
	s_branch .LBB48_12
.LBB48_33:
	s_wait_alu 0xfffe
	s_or_b32 exec_lo, exec_lo, s2
	s_delay_alu instid0(SALU_CYCLE_1)
	s_mov_b32 s3, exec_lo
	s_wait_loadcnt_dscnt 0x0
	global_inv scope:SCOPE_SE
	v_cmpx_lt_i32_e64 v19, v18
	s_cbranch_execz .LBB48_63
; %bb.34:
	v_add_nc_u32_e32 v27, 1, v24
	s_mov_b32 s14, 0
	s_branch .LBB48_37
.LBB48_35:                              ;   in Loop: Header=BB48_37 Depth=1
	s_or_b32 exec_lo, exec_lo, s15
	v_add_nc_u32_e32 v19, 1, v19
	s_delay_alu instid0(VALU_DEP_1)
	v_cmp_ge_i32_e32 vcc_lo, v19, v18
	s_or_not1_b32 s15, vcc_lo, exec_lo
.LBB48_36:                              ;   in Loop: Header=BB48_37 Depth=1
	s_wait_alu 0xfffe
	s_or_b32 exec_lo, exec_lo, s2
	s_delay_alu instid0(SALU_CYCLE_1) | instskip(SKIP_2) | instid1(SALU_CYCLE_1)
	s_and_b32 s2, exec_lo, s15
	s_wait_alu 0xfffe
	s_or_b32 s14, s2, s14
	s_and_not1_b32 exec_lo, exec_lo, s14
	s_cbranch_execz .LBB48_63
.LBB48_37:                              ; =>This Loop Header: Depth=1
                                        ;     Child Loop BB48_38 Depth 2
                                        ;     Child Loop BB48_43 Depth 2
                                        ;       Child Loop BB48_52 Depth 3
	v_ashrrev_i32_e32 v20, 31, v19
	s_mov_b32 s2, 0
	s_delay_alu instid0(VALU_DEP_1) | instskip(SKIP_1) | instid1(VALU_DEP_2)
	v_lshlrev_b64_e32 v[5:6], 2, v[19:20]
	v_lshlrev_b64_e32 v[7:8], 4, v[19:20]
	v_add_co_u32 v5, vcc_lo, s6, v5
	s_wait_alu 0xfffd
	s_delay_alu instid0(VALU_DEP_3) | instskip(NEXT) | instid1(VALU_DEP_3)
	v_add_co_ci_u32_e64 v6, null, s7, v6, vcc_lo
	v_add_co_u32 v20, vcc_lo, s8, v7
	s_wait_alu 0xfffd
	v_add_co_ci_u32_e64 v21, null, s9, v8, vcc_lo
	global_load_b32 v5, v[5:6], off
	s_wait_loadcnt 0x0
	v_subrev_nc_u32_e32 v5, s28, v5
	s_delay_alu instid0(VALU_DEP_1) | instskip(NEXT) | instid1(VALU_DEP_1)
	v_ashrrev_i32_e32 v6, 31, v5
	v_lshlrev_b64_e32 v[9:10], 2, v[5:6]
	s_delay_alu instid0(VALU_DEP_1) | instskip(SKIP_1) | instid1(VALU_DEP_2)
	v_add_co_u32 v11, vcc_lo, s4, v9
	s_wait_alu 0xfffd
	v_add_co_ci_u32_e64 v12, null, s5, v10, vcc_lo
	v_add_co_u32 v22, vcc_lo, s10, v9
	s_wait_alu 0xfffd
	v_add_co_ci_u32_e64 v23, null, s11, v10, vcc_lo
	global_load_b128 v[5:8], v[20:21], off
	global_load_b32 v11, v[11:12], off offset:4
	global_load_b32 v12, v[22:23], off
	v_add_co_u32 v9, vcc_lo, s12, v9
	s_wait_alu 0xfffd
	v_add_co_ci_u32_e64 v10, null, s13, v10, vcc_lo
.LBB48_38:                              ;   Parent Loop BB48_37 Depth=1
                                        ; =>  This Inner Loop Header: Depth=2
	global_load_b32 v22, v[9:10], off scope:SCOPE_DEV
	s_wait_loadcnt 0x0
	v_cmp_ne_u32_e32 vcc_lo, 0, v22
	s_wait_alu 0xfffe
	s_or_b32 s2, vcc_lo, s2
	s_wait_alu 0xfffe
	s_and_not1_b32 exec_lo, exec_lo, s2
	s_cbranch_execnz .LBB48_38
; %bb.39:                               ;   in Loop: Header=BB48_37 Depth=1
	s_or_b32 exec_lo, exec_lo, s2
	v_subrev_nc_u32_e32 v28, s28, v11
	v_cmp_eq_u32_e32 vcc_lo, -1, v12
	global_inv scope:SCOPE_DEV
	s_mov_b32 s15, -1
	v_add_nc_u32_e32 v9, -1, v28
	s_wait_alu 0xfffd
	s_delay_alu instid0(VALU_DEP_1) | instskip(NEXT) | instid1(VALU_DEP_1)
	v_cndmask_b32_e32 v22, v12, v9, vcc_lo
	v_ashrrev_i32_e32 v23, 31, v22
	s_delay_alu instid0(VALU_DEP_1) | instskip(NEXT) | instid1(VALU_DEP_1)
	v_lshlrev_b64_e32 v[9:10], 4, v[22:23]
	v_add_co_u32 v9, vcc_lo, s8, v9
	s_wait_alu 0xfffd
	s_delay_alu instid0(VALU_DEP_2)
	v_add_co_ci_u32_e64 v10, null, s9, v10, vcc_lo
	global_load_b128 v[9:12], v[9:10], off
	s_wait_loadcnt 0x0
	v_cmp_neq_f64_e32 vcc_lo, 0, v[9:10]
	v_cmp_neq_f64_e64 s2, 0, v[11:12]
	s_or_b32 s22, vcc_lo, s2
	s_delay_alu instid0(SALU_CYCLE_1)
	s_and_saveexec_b32 s2, s22
	s_cbranch_execz .LBB48_36
; %bb.40:                               ;   in Loop: Header=BB48_37 Depth=1
	v_mul_f64_e32 v[29:30], v[11:12], v[11:12]
	s_mov_b32 s15, exec_lo
	s_delay_alu instid0(VALU_DEP_1) | instskip(NEXT) | instid1(VALU_DEP_1)
	v_fma_f64 v[29:30], v[9:10], v[9:10], v[29:30]
	v_div_scale_f64 v[31:32], null, v[29:30], v[29:30], 1.0
	v_div_scale_f64 v[37:38], vcc_lo, 1.0, v[29:30], 1.0
	s_delay_alu instid0(VALU_DEP_2) | instskip(NEXT) | instid1(TRANS32_DEP_1)
	v_rcp_f64_e32 v[33:34], v[31:32]
	v_fma_f64 v[35:36], -v[31:32], v[33:34], 1.0
	s_delay_alu instid0(VALU_DEP_1) | instskip(NEXT) | instid1(VALU_DEP_1)
	v_fma_f64 v[33:34], v[33:34], v[35:36], v[33:34]
	v_fma_f64 v[35:36], -v[31:32], v[33:34], 1.0
	s_delay_alu instid0(VALU_DEP_1) | instskip(NEXT) | instid1(VALU_DEP_1)
	v_fma_f64 v[33:34], v[33:34], v[35:36], v[33:34]
	v_mul_f64_e32 v[35:36], v[37:38], v[33:34]
	s_delay_alu instid0(VALU_DEP_1) | instskip(SKIP_3) | instid1(VALU_DEP_3)
	v_fma_f64 v[31:32], -v[31:32], v[35:36], v[37:38]
	v_mul_f64_e32 v[37:38], v[7:8], v[11:12]
	v_mul_f64_e64 v[11:12], v[11:12], -v[5:6]
	s_wait_alu 0xfffd
	v_div_fmas_f64 v[31:32], v[31:32], v[33:34], v[35:36]
	s_delay_alu instid0(VALU_DEP_3) | instskip(NEXT) | instid1(VALU_DEP_3)
	v_fma_f64 v[5:6], v[5:6], v[9:10], v[37:38]
	v_fma_f64 v[7:8], v[7:8], v[9:10], v[11:12]
	v_add_nc_u32_e32 v9, v27, v22
	s_delay_alu instid0(VALU_DEP_4) | instskip(NEXT) | instid1(VALU_DEP_1)
	v_div_fixup_f64 v[29:30], v[31:32], v[29:30], 1.0
	v_mul_f64_e32 v[5:6], v[5:6], v[29:30]
	s_delay_alu instid0(VALU_DEP_4)
	v_mul_f64_e32 v[7:8], v[7:8], v[29:30]
	global_store_b128 v[20:21], v[5:8], off
	v_cmpx_lt_i32_e64 v9, v28
	s_cbranch_execz .LBB48_35
; %bb.41:                               ;   in Loop: Header=BB48_37 Depth=1
	s_mov_b32 s22, 0
	s_branch .LBB48_43
.LBB48_42:                              ;   in Loop: Header=BB48_43 Depth=2
	s_or_b32 exec_lo, exec_lo, s23
	v_add_nc_u32_e32 v9, 64, v9
	s_delay_alu instid0(VALU_DEP_1) | instskip(SKIP_1) | instid1(SALU_CYCLE_1)
	v_cmp_ge_i32_e32 vcc_lo, v9, v28
	s_or_b32 s22, vcc_lo, s22
	s_and_not1_b32 exec_lo, exec_lo, s22
	s_cbranch_execz .LBB48_35
.LBB48_43:                              ;   Parent Loop BB48_37 Depth=1
                                        ; =>  This Loop Header: Depth=2
                                        ;       Child Loop BB48_52 Depth 3
	v_ashrrev_i32_e32 v10, 31, v9
	s_mov_b32 s23, 0
                                        ; implicit-def: $sgpr24
                                        ; implicit-def: $sgpr25
                                        ; implicit-def: $sgpr26
	s_delay_alu instid0(VALU_DEP_1) | instskip(NEXT) | instid1(VALU_DEP_1)
	v_lshlrev_b64_e32 v[11:12], 2, v[9:10]
	v_add_co_u32 v11, vcc_lo, s6, v11
	s_wait_alu 0xfffd
	s_delay_alu instid0(VALU_DEP_2)
	v_add_co_ci_u32_e64 v12, null, s7, v12, vcc_lo
	global_load_b32 v11, v[11:12], off
	v_mov_b32_e32 v12, 0x100
	s_wait_loadcnt 0x0
	v_mul_lo_u32 v21, 0x67, v11
	s_branch .LBB48_52
.LBB48_44:                              ;   in Loop: Header=BB48_52 Depth=3
	s_or_b32 exec_lo, exec_lo, s39
	s_delay_alu instid0(SALU_CYCLE_1)
	s_or_not1_b32 s37, s37, exec_lo
	s_or_not1_b32 s38, s38, exec_lo
.LBB48_45:                              ;   in Loop: Header=BB48_52 Depth=3
	s_or_b32 exec_lo, exec_lo, s36
	s_delay_alu instid0(SALU_CYCLE_1)
	s_and_b32 s37, s37, exec_lo
	s_or_not1_b32 s36, s38, exec_lo
.LBB48_46:                              ;   in Loop: Header=BB48_52 Depth=3
	s_or_b32 exec_lo, exec_lo, s35
	s_delay_alu instid0(SALU_CYCLE_1)
	s_or_not1_b32 s35, s37, exec_lo
	s_or_not1_b32 s36, s36, exec_lo
.LBB48_47:                              ;   in Loop: Header=BB48_52 Depth=3
	s_or_b32 exec_lo, exec_lo, s34
	s_delay_alu instid0(SALU_CYCLE_1)
	s_and_b32 s35, s35, exec_lo
	s_or_not1_b32 s34, s36, exec_lo
.LBB48_48:                              ;   in Loop: Header=BB48_52 Depth=3
	s_or_b32 exec_lo, exec_lo, s33
	s_delay_alu instid0(SALU_CYCLE_1)
	s_or_not1_b32 s33, s35, exec_lo
	s_or_not1_b32 s34, s34, exec_lo
.LBB48_49:                              ;   in Loop: Header=BB48_52 Depth=3
	s_or_b32 exec_lo, exec_lo, s31
	s_delay_alu instid0(SALU_CYCLE_1)
	s_and_b32 s33, s33, exec_lo
	s_or_not1_b32 s31, s34, exec_lo
.LBB48_50:                              ;   in Loop: Header=BB48_52 Depth=3
	s_or_b32 exec_lo, exec_lo, s30
	s_wait_alu 0xfffe
	s_and_not1_b32 s26, s26, exec_lo
	s_and_b32 s30, s33, exec_lo
	s_and_not1_b32 s25, s25, exec_lo
	s_and_b32 s31, s31, exec_lo
	s_wait_alu 0xfffe
	s_or_b32 s26, s26, s30
	s_or_b32 s25, s25, s31
.LBB48_51:                              ;   in Loop: Header=BB48_52 Depth=3
	s_wait_alu 0xfffe
	s_or_b32 exec_lo, exec_lo, s27
	s_delay_alu instid0(SALU_CYCLE_1)
	s_and_b32 s27, exec_lo, s25
	s_wait_alu 0xfffe
	s_or_b32 s23, s27, s23
	s_and_not1_b32 s24, s24, exec_lo
	s_and_b32 s27, s26, exec_lo
	s_wait_alu 0xfffe
	s_or_b32 s24, s24, s27
	s_and_not1_b32 exec_lo, exec_lo, s23
	s_cbranch_execz .LBB48_61
.LBB48_52:                              ;   Parent Loop BB48_37 Depth=1
                                        ;     Parent Loop BB48_43 Depth=2
                                        ; =>    This Inner Loop Header: Depth=3
	s_delay_alu instid0(VALU_DEP_1) | instskip(SKIP_3) | instid1(VALU_DEP_1)
	v_and_b32_e32 v20, 0xff, v21
	s_or_b32 s26, s26, exec_lo
	s_or_b32 s25, s25, exec_lo
	s_mov_b32 s27, exec_lo
	v_lshl_add_u32 v22, v20, 2, v26
	ds_load_b32 v22, v22
	s_wait_dscnt 0x0
	v_cmpx_ne_u32_e32 -1, v22
	s_cbranch_execz .LBB48_51
; %bb.53:                               ;   in Loop: Header=BB48_52 Depth=3
	s_mov_b32 s31, -1
	s_mov_b32 s33, 0
	s_mov_b32 s30, exec_lo
	v_cmpx_ne_u32_e64 v22, v11
	s_cbranch_execz .LBB48_50
; %bb.54:                               ;   in Loop: Header=BB48_52 Depth=3
	v_add_nc_u32_e32 v20, 1, v21
	s_mov_b32 s34, -1
	s_mov_b32 s33, -1
	s_mov_b32 s31, exec_lo
	s_delay_alu instid0(VALU_DEP_1) | instskip(NEXT) | instid1(VALU_DEP_1)
	v_and_b32_e32 v20, 0xff, v20
	v_lshl_add_u32 v22, v20, 2, v26
	ds_load_b32 v22, v22
	s_wait_dscnt 0x0
	v_cmpx_ne_u32_e32 -1, v22
	s_cbranch_execz .LBB48_49
; %bb.55:                               ;   in Loop: Header=BB48_52 Depth=3
	s_mov_b32 s35, 0
	s_mov_b32 s33, exec_lo
	v_cmpx_ne_u32_e64 v22, v11
	s_cbranch_execz .LBB48_48
; %bb.56:                               ;   in Loop: Header=BB48_52 Depth=3
	v_add_nc_u32_e32 v20, 2, v21
	s_mov_b32 s36, -1
	s_mov_b32 s35, -1
	s_mov_b32 s34, exec_lo
	s_delay_alu instid0(VALU_DEP_1) | instskip(NEXT) | instid1(VALU_DEP_1)
	v_and_b32_e32 v20, 0xff, v20
	v_lshl_add_u32 v22, v20, 2, v26
	ds_load_b32 v22, v22
	s_wait_dscnt 0x0
	v_cmpx_ne_u32_e32 -1, v22
	s_cbranch_execz .LBB48_47
; %bb.57:                               ;   in Loop: Header=BB48_52 Depth=3
	s_mov_b32 s37, 0
	s_mov_b32 s35, exec_lo
	v_cmpx_ne_u32_e64 v22, v11
	s_cbranch_execz .LBB48_46
; %bb.58:                               ;   in Loop: Header=BB48_52 Depth=3
	v_add_nc_u32_e32 v20, 3, v21
	s_mov_b32 s38, -1
	s_mov_b32 s37, -1
	s_mov_b32 s36, exec_lo
	s_delay_alu instid0(VALU_DEP_1) | instskip(NEXT) | instid1(VALU_DEP_1)
	v_and_b32_e32 v20, 0xff, v20
	v_lshl_add_u32 v21, v20, 2, v26
	ds_load_b32 v22, v21
                                        ; implicit-def: $vgpr21
	s_wait_dscnt 0x0
	v_cmpx_ne_u32_e32 -1, v22
	s_cbranch_execz .LBB48_45
; %bb.59:                               ;   in Loop: Header=BB48_52 Depth=3
	s_mov_b32 s37, 0
	s_mov_b32 s39, exec_lo
                                        ; implicit-def: $vgpr21
	v_cmpx_ne_u32_e64 v22, v11
	s_cbranch_execz .LBB48_44
; %bb.60:                               ;   in Loop: Header=BB48_52 Depth=3
	v_add_nc_u32_e32 v12, -4, v12
	v_add_nc_u32_e32 v21, 1, v20
	s_mov_b32 s37, exec_lo
	s_delay_alu instid0(VALU_DEP_2)
	v_cmp_eq_u32_e32 vcc_lo, 0, v12
	s_or_not1_b32 s38, vcc_lo, exec_lo
	s_branch .LBB48_44
.LBB48_61:                              ;   in Loop: Header=BB48_43 Depth=2
	s_or_b32 exec_lo, exec_lo, s23
	s_wait_alu 0xfffe
	s_xor_b32 s23, s24, -1
	s_delay_alu instid0(SALU_CYCLE_1)
	s_and_saveexec_b32 s24, s23
	s_wait_alu 0xfffe
	s_xor_b32 s23, exec_lo, s24
	s_cbranch_execz .LBB48_42
; %bb.62:                               ;   in Loop: Header=BB48_43 Depth=2
	v_lshl_add_u32 v11, v20, 2, v0
	v_lshlrev_b64_e32 v[20:21], 4, v[9:10]
	ds_load_b32 v11, v11
	v_add_co_u32 v20, vcc_lo, s8, v20
	s_wait_alu 0xfffd
	v_add_co_ci_u32_e64 v21, null, s9, v21, vcc_lo
	s_wait_dscnt 0x0
	v_ashrrev_i32_e32 v12, 31, v11
	s_delay_alu instid0(VALU_DEP_1) | instskip(NEXT) | instid1(VALU_DEP_1)
	v_lshlrev_b64_e32 v[10:11], 4, v[11:12]
	v_add_co_u32 v10, vcc_lo, s8, v10
	s_wait_alu 0xfffd
	s_delay_alu instid0(VALU_DEP_2)
	v_add_co_ci_u32_e64 v11, null, s9, v11, vcc_lo
	s_clause 0x1
	global_load_b128 v[20:23], v[20:21], off
	global_load_b128 v[29:32], v[10:11], off
	s_wait_loadcnt 0x0
	v_fma_f64 v[29:30], -v[5:6], v[20:21], v[29:30]
	v_fma_f64 v[31:32], -v[7:8], v[20:21], v[31:32]
	s_delay_alu instid0(VALU_DEP_2) | instskip(NEXT) | instid1(VALU_DEP_2)
	v_fma_f64 v[20:21], v[7:8], v[22:23], v[29:30]
	v_fma_f64 v[22:23], -v[5:6], v[22:23], v[31:32]
	global_store_b128 v[10:11], v[20:23], off
	s_branch .LBB48_42
.LBB48_63:
	s_wait_alu 0xfffe
	s_or_b32 exec_lo, exec_lo, s3
	s_delay_alu instid0(SALU_CYCLE_1)
	s_mov_b32 s3, exec_lo
	s_wait_loadcnt 0x0
	s_wait_storecnt 0x0
	global_inv scope:SCOPE_SE
	v_cmpx_lt_i32_e32 -1, v18
	s_cbranch_execz .LBB48_85
; %bb.64:
	v_mov_b32_e32 v19, 0
	s_mov_b32 s2, exec_lo
	s_delay_alu instid0(VALU_DEP_1) | instskip(NEXT) | instid1(VALU_DEP_1)
	v_lshlrev_b64_e32 v[5:6], 4, v[18:19]
	v_add_co_u32 v9, vcc_lo, s8, v5
	s_wait_alu 0xfffd
	s_delay_alu instid0(VALU_DEP_2)
	v_add_co_ci_u32_e64 v10, null, s9, v6, vcc_lo
	global_load_b128 v[5:8], v[9:10], off
	s_wait_loadcnt 0x0
	v_cmp_gt_f64_e32 vcc_lo, 0, v[5:6]
	v_xor_b32_e32 v0, 0x80000000, v6
	v_xor_b32_e32 v18, 0x80000000, v8
	v_dual_mov_b32 v11, v5 :: v_dual_mov_b32 v20, v7
	s_wait_alu 0xfffd
	s_delay_alu instid0(VALU_DEP_3) | instskip(SKIP_3) | instid1(VALU_DEP_1)
	v_cndmask_b32_e32 v12, v6, v0, vcc_lo
	v_cmp_gt_f64_e32 vcc_lo, 0, v[7:8]
	s_wait_alu 0xfffd
	v_cndmask_b32_e32 v21, v8, v18, vcc_lo
                                        ; implicit-def: $vgpr18_vgpr19
	v_cmpx_ngt_f64_e32 v[11:12], v[20:21]
	s_wait_alu 0xfffe
	s_xor_b32 s2, exec_lo, s2
	s_cbranch_execz .LBB48_68
; %bb.65:
	v_mov_b32_e32 v18, 0
	v_mov_b32_e32 v19, 0
	s_mov_b32 s4, exec_lo
	v_cmpx_neq_f64_e32 0, v[7:8]
	s_cbranch_execz .LBB48_67
; %bb.66:
	v_div_scale_f64 v[18:19], null, v[20:21], v[20:21], v[11:12]
	v_div_scale_f64 v[28:29], vcc_lo, v[11:12], v[20:21], v[11:12]
	s_delay_alu instid0(VALU_DEP_2) | instskip(NEXT) | instid1(TRANS32_DEP_1)
	v_rcp_f64_e32 v[22:23], v[18:19]
	v_fma_f64 v[26:27], -v[18:19], v[22:23], 1.0
	s_delay_alu instid0(VALU_DEP_1) | instskip(NEXT) | instid1(VALU_DEP_1)
	v_fma_f64 v[22:23], v[22:23], v[26:27], v[22:23]
	v_fma_f64 v[26:27], -v[18:19], v[22:23], 1.0
	s_delay_alu instid0(VALU_DEP_1) | instskip(NEXT) | instid1(VALU_DEP_1)
	v_fma_f64 v[22:23], v[22:23], v[26:27], v[22:23]
	v_mul_f64_e32 v[26:27], v[28:29], v[22:23]
	s_delay_alu instid0(VALU_DEP_1) | instskip(SKIP_1) | instid1(VALU_DEP_1)
	v_fma_f64 v[18:19], -v[18:19], v[26:27], v[28:29]
	s_wait_alu 0xfffd
	v_div_fmas_f64 v[18:19], v[18:19], v[22:23], v[26:27]
	s_delay_alu instid0(VALU_DEP_1) | instskip(NEXT) | instid1(VALU_DEP_1)
	v_div_fixup_f64 v[11:12], v[18:19], v[20:21], v[11:12]
	v_fma_f64 v[11:12], v[11:12], v[11:12], 1.0
	s_delay_alu instid0(VALU_DEP_1) | instskip(SKIP_2) | instid1(VALU_DEP_1)
	v_cmp_gt_f64_e32 vcc_lo, 0x10000000, v[11:12]
	s_wait_alu 0xfffd
	v_cndmask_b32_e64 v0, 0, 0x100, vcc_lo
	v_ldexp_f64 v[11:12], v[11:12], v0
	v_cndmask_b32_e64 v0, 0, 0xffffff80, vcc_lo
	s_delay_alu instid0(VALU_DEP_2) | instskip(SKIP_1) | instid1(TRANS32_DEP_1)
	v_rsq_f64_e32 v[18:19], v[11:12]
	v_cmp_class_f64_e64 vcc_lo, v[11:12], 0x260
	v_mul_f64_e32 v[22:23], v[11:12], v[18:19]
	v_mul_f64_e32 v[18:19], 0.5, v[18:19]
	s_delay_alu instid0(VALU_DEP_1) | instskip(NEXT) | instid1(VALU_DEP_1)
	v_fma_f64 v[26:27], -v[18:19], v[22:23], 0.5
	v_fma_f64 v[22:23], v[22:23], v[26:27], v[22:23]
	v_fma_f64 v[18:19], v[18:19], v[26:27], v[18:19]
	s_delay_alu instid0(VALU_DEP_2) | instskip(NEXT) | instid1(VALU_DEP_1)
	v_fma_f64 v[26:27], -v[22:23], v[22:23], v[11:12]
	v_fma_f64 v[22:23], v[26:27], v[18:19], v[22:23]
	s_delay_alu instid0(VALU_DEP_1) | instskip(NEXT) | instid1(VALU_DEP_1)
	v_fma_f64 v[26:27], -v[22:23], v[22:23], v[11:12]
	v_fma_f64 v[18:19], v[26:27], v[18:19], v[22:23]
	s_delay_alu instid0(VALU_DEP_1) | instskip(SKIP_1) | instid1(VALU_DEP_1)
	v_ldexp_f64 v[18:19], v[18:19], v0
	s_wait_alu 0xfffd
	v_dual_cndmask_b32 v12, v19, v12 :: v_dual_cndmask_b32 v11, v18, v11
	s_delay_alu instid0(VALU_DEP_1)
	v_mul_f64_e32 v[18:19], v[20:21], v[11:12]
.LBB48_67:
	s_wait_alu 0xfffe
	s_or_b32 exec_lo, exec_lo, s4
                                        ; implicit-def: $vgpr11_vgpr12
                                        ; implicit-def: $vgpr20_vgpr21
.LBB48_68:
	s_wait_alu 0xfffe
	s_and_not1_saveexec_b32 s2, s2
	s_cbranch_execz .LBB48_70
; %bb.69:
	v_div_scale_f64 v[18:19], null, v[11:12], v[11:12], v[20:21]
	v_div_scale_f64 v[28:29], vcc_lo, v[20:21], v[11:12], v[20:21]
	s_delay_alu instid0(VALU_DEP_2) | instskip(NEXT) | instid1(TRANS32_DEP_1)
	v_rcp_f64_e32 v[22:23], v[18:19]
	v_fma_f64 v[26:27], -v[18:19], v[22:23], 1.0
	s_delay_alu instid0(VALU_DEP_1) | instskip(NEXT) | instid1(VALU_DEP_1)
	v_fma_f64 v[22:23], v[22:23], v[26:27], v[22:23]
	v_fma_f64 v[26:27], -v[18:19], v[22:23], 1.0
	s_delay_alu instid0(VALU_DEP_1) | instskip(NEXT) | instid1(VALU_DEP_1)
	v_fma_f64 v[22:23], v[22:23], v[26:27], v[22:23]
	v_mul_f64_e32 v[26:27], v[28:29], v[22:23]
	s_delay_alu instid0(VALU_DEP_1) | instskip(SKIP_1) | instid1(VALU_DEP_1)
	v_fma_f64 v[18:19], -v[18:19], v[26:27], v[28:29]
	s_wait_alu 0xfffd
	v_div_fmas_f64 v[18:19], v[18:19], v[22:23], v[26:27]
	s_delay_alu instid0(VALU_DEP_1) | instskip(NEXT) | instid1(VALU_DEP_1)
	v_div_fixup_f64 v[18:19], v[18:19], v[11:12], v[20:21]
	v_fma_f64 v[18:19], v[18:19], v[18:19], 1.0
	s_delay_alu instid0(VALU_DEP_1) | instskip(SKIP_2) | instid1(VALU_DEP_1)
	v_cmp_gt_f64_e32 vcc_lo, 0x10000000, v[18:19]
	s_wait_alu 0xfffd
	v_cndmask_b32_e64 v0, 0, 0x100, vcc_lo
	v_ldexp_f64 v[18:19], v[18:19], v0
	v_cndmask_b32_e64 v0, 0, 0xffffff80, vcc_lo
	s_delay_alu instid0(VALU_DEP_2) | instskip(SKIP_1) | instid1(TRANS32_DEP_1)
	v_rsq_f64_e32 v[20:21], v[18:19]
	v_cmp_class_f64_e64 vcc_lo, v[18:19], 0x260
	v_mul_f64_e32 v[22:23], v[18:19], v[20:21]
	v_mul_f64_e32 v[20:21], 0.5, v[20:21]
	s_delay_alu instid0(VALU_DEP_1) | instskip(NEXT) | instid1(VALU_DEP_1)
	v_fma_f64 v[26:27], -v[20:21], v[22:23], 0.5
	v_fma_f64 v[22:23], v[22:23], v[26:27], v[22:23]
	v_fma_f64 v[20:21], v[20:21], v[26:27], v[20:21]
	s_delay_alu instid0(VALU_DEP_2) | instskip(NEXT) | instid1(VALU_DEP_1)
	v_fma_f64 v[26:27], -v[22:23], v[22:23], v[18:19]
	v_fma_f64 v[22:23], v[26:27], v[20:21], v[22:23]
	s_delay_alu instid0(VALU_DEP_1) | instskip(NEXT) | instid1(VALU_DEP_1)
	v_fma_f64 v[26:27], -v[22:23], v[22:23], v[18:19]
	v_fma_f64 v[20:21], v[26:27], v[20:21], v[22:23]
	s_delay_alu instid0(VALU_DEP_1) | instskip(SKIP_1) | instid1(VALU_DEP_1)
	v_ldexp_f64 v[20:21], v[20:21], v0
	s_wait_alu 0xfffd
	v_dual_cndmask_b32 v19, v21, v19 :: v_dual_cndmask_b32 v18, v20, v18
	s_delay_alu instid0(VALU_DEP_1)
	v_mul_f64_e32 v[18:19], v[11:12], v[18:19]
.LBB48_70:
	s_wait_alu 0xfffe
	s_or_b32 exec_lo, exec_lo, s2
	v_cmp_ne_u32_e32 vcc_lo, 1, v25
	v_cmp_eq_u32_e64 s2, 0, v24
	s_mov_b32 s4, -1
	s_cbranch_vccnz .LBB48_74
; %bb.71:
	v_cvt_f64_f32_e32 v[11:12], s29
	s_cmp_eq_u64 s[20:21], 8
	s_cselect_b32 vcc_lo, -1, 0
	s_wait_alu 0xfffe
	s_delay_alu instid0(VALU_DEP_1) | instskip(NEXT) | instid1(VALU_DEP_1)
	v_dual_cndmask_b32 v12, v12, v16 :: v_dual_cndmask_b32 v11, v11, v15
	v_cmp_le_f64_e32 vcc_lo, v[18:19], v[11:12]
	s_and_b32 s5, s2, vcc_lo
	s_wait_alu 0xfffe
	s_and_saveexec_b32 s4, s5
	s_cbranch_execz .LBB48_73
; %bb.72:
	global_store_b128 v[9:10], v[1:4], off
	s_wait_storecnt 0x0
	global_inv scope:SCOPE_DEV
.LBB48_73:
	s_wait_alu 0xfffe
	s_or_b32 exec_lo, exec_lo, s4
	s_mov_b32 s4, 0
.LBB48_74:
	s_wait_alu 0xfffe
	s_and_not1_b32 vcc_lo, exec_lo, s4
	s_wait_alu 0xfffe
	s_cbranch_vccnz .LBB48_85
; %bb.75:
	s_load_b64 s[0:1], s[0:1], 0x48
	v_add_nc_u32_e32 v0, s28, v17
	s_wait_kmcnt 0x0
	v_cmp_ge_f64_e32 vcc_lo, s[0:1], v[18:19]
	s_and_b32 s1, s2, vcc_lo
	s_wait_alu 0xfffe
	s_and_saveexec_b32 s0, s1
	s_cbranch_execz .LBB48_80
; %bb.76:
	s_mov_b32 s4, exec_lo
	s_brev_b32 s1, -2
.LBB48_77:                              ; =>This Inner Loop Header: Depth=1
	s_wait_alu 0xfffe
	s_ctz_i32_b32 s5, s4
	s_wait_alu 0xfffe
	v_readlane_b32 s6, v0, s5
	s_lshl_b32 s5, 1, s5
	s_wait_alu 0xfffe
	s_and_not1_b32 s4, s4, s5
	s_min_i32 s1, s1, s6
	s_wait_alu 0xfffe
	s_cmp_lg_u32 s4, 0
	s_cbranch_scc1 .LBB48_77
; %bb.78:
	v_mbcnt_lo_u32_b32 v1, exec_lo, 0
	s_mov_b32 s4, exec_lo
	s_delay_alu instid0(VALU_DEP_1)
	v_cmpx_eq_u32_e32 0, v1
	s_wait_alu 0xfffe
	s_xor_b32 s4, exec_lo, s4
	s_cbranch_execz .LBB48_80
; %bb.79:
	v_dual_mov_b32 v1, 0 :: v_dual_mov_b32 v2, s1
	global_atomic_min_i32 v1, v2, s[18:19] scope:SCOPE_DEV
.LBB48_80:
	s_wait_alu 0xfffe
	s_or_b32 exec_lo, exec_lo, s0
	v_cmp_eq_f64_e32 vcc_lo, 0, v[5:6]
	v_cmp_eq_f64_e64 s0, 0, v[7:8]
	s_and_b32 s0, vcc_lo, s0
	s_wait_alu 0xfffe
	s_and_b32 s0, s2, s0
	s_wait_alu 0xfffe
	s_and_b32 exec_lo, exec_lo, s0
	s_cbranch_execz .LBB48_85
; %bb.81:
	s_mov_b32 s1, exec_lo
	s_brev_b32 s0, -2
.LBB48_82:                              ; =>This Inner Loop Header: Depth=1
	s_wait_alu 0xfffe
	s_ctz_i32_b32 s2, s1
	s_wait_alu 0xfffe
	v_readlane_b32 s4, v0, s2
	s_lshl_b32 s2, 1, s2
	s_wait_alu 0xfffe
	s_and_not1_b32 s1, s1, s2
	s_min_i32 s0, s0, s4
	s_wait_alu 0xfffe
	s_cmp_lg_u32 s1, 0
	s_cbranch_scc1 .LBB48_82
; %bb.83:
	v_mbcnt_lo_u32_b32 v0, exec_lo, 0
	s_mov_b32 s1, exec_lo
	s_delay_alu instid0(VALU_DEP_1)
	v_cmpx_eq_u32_e32 0, v0
	s_wait_alu 0xfffe
	s_xor_b32 s1, exec_lo, s1
	s_cbranch_execz .LBB48_85
; %bb.84:
	v_dual_mov_b32 v0, 0 :: v_dual_mov_b32 v1, s0
	global_atomic_min_i32 v0, v1, s[16:17] scope:SCOPE_DEV
.LBB48_85:
	s_wait_alu 0xfffe
	s_or_b32 exec_lo, exec_lo, s3
	v_cmp_eq_u32_e32 vcc_lo, 0, v24
	s_wait_loadcnt 0x0
	s_wait_storecnt 0x0
	global_inv scope:SCOPE_DEV
	s_and_b32 exec_lo, exec_lo, vcc_lo
	s_cbranch_execz .LBB48_87
; %bb.86:
	v_add_co_u32 v0, vcc_lo, s12, v13
	s_wait_alu 0xfffd
	v_add_co_ci_u32_e64 v1, null, s13, v14, vcc_lo
	v_mov_b32_e32 v2, 1
	s_wait_loadcnt 0x0
	global_store_b32 v[0:1], v2, off scope:SCOPE_DEV
.LBB48_87:
	s_endpgm
	.section	.rodata,"a",@progbits
	.p2align	6, 0x0
	.amdhsa_kernel _ZN9rocsparseL12csrilu0_hashILj256ELj64ELj4E21rocsparse_complex_numIdEEEviPKiS4_PT2_S4_PiS4_S7_S7_d21rocsparse_index_base_imNS_24const_host_device_scalarIfEENS9_IdEENS9_IS5_EEb
		.amdhsa_group_segment_fixed_size 8192
		.amdhsa_private_segment_fixed_size 16
		.amdhsa_kernarg_size 132
		.amdhsa_user_sgpr_count 2
		.amdhsa_user_sgpr_dispatch_ptr 0
		.amdhsa_user_sgpr_queue_ptr 0
		.amdhsa_user_sgpr_kernarg_segment_ptr 1
		.amdhsa_user_sgpr_dispatch_id 0
		.amdhsa_user_sgpr_private_segment_size 0
		.amdhsa_wavefront_size32 1
		.amdhsa_uses_dynamic_stack 0
		.amdhsa_enable_private_segment 1
		.amdhsa_system_sgpr_workgroup_id_x 1
		.amdhsa_system_sgpr_workgroup_id_y 0
		.amdhsa_system_sgpr_workgroup_id_z 0
		.amdhsa_system_sgpr_workgroup_info 0
		.amdhsa_system_vgpr_workitem_id 0
		.amdhsa_next_free_vgpr 39
		.amdhsa_next_free_sgpr 40
		.amdhsa_reserve_vcc 1
		.amdhsa_float_round_mode_32 0
		.amdhsa_float_round_mode_16_64 0
		.amdhsa_float_denorm_mode_32 3
		.amdhsa_float_denorm_mode_16_64 3
		.amdhsa_fp16_overflow 0
		.amdhsa_workgroup_processor_mode 1
		.amdhsa_memory_ordered 1
		.amdhsa_forward_progress 1
		.amdhsa_inst_pref_size 33
		.amdhsa_round_robin_scheduling 0
		.amdhsa_exception_fp_ieee_invalid_op 0
		.amdhsa_exception_fp_denorm_src 0
		.amdhsa_exception_fp_ieee_div_zero 0
		.amdhsa_exception_fp_ieee_overflow 0
		.amdhsa_exception_fp_ieee_underflow 0
		.amdhsa_exception_fp_ieee_inexact 0
		.amdhsa_exception_int_div_zero 0
	.end_amdhsa_kernel
	.section	.text._ZN9rocsparseL12csrilu0_hashILj256ELj64ELj4E21rocsparse_complex_numIdEEEviPKiS4_PT2_S4_PiS4_S7_S7_d21rocsparse_index_base_imNS_24const_host_device_scalarIfEENS9_IdEENS9_IS5_EEb,"axG",@progbits,_ZN9rocsparseL12csrilu0_hashILj256ELj64ELj4E21rocsparse_complex_numIdEEEviPKiS4_PT2_S4_PiS4_S7_S7_d21rocsparse_index_base_imNS_24const_host_device_scalarIfEENS9_IdEENS9_IS5_EEb,comdat
.Lfunc_end48:
	.size	_ZN9rocsparseL12csrilu0_hashILj256ELj64ELj4E21rocsparse_complex_numIdEEEviPKiS4_PT2_S4_PiS4_S7_S7_d21rocsparse_index_base_imNS_24const_host_device_scalarIfEENS9_IdEENS9_IS5_EEb, .Lfunc_end48-_ZN9rocsparseL12csrilu0_hashILj256ELj64ELj4E21rocsparse_complex_numIdEEEviPKiS4_PT2_S4_PiS4_S7_S7_d21rocsparse_index_base_imNS_24const_host_device_scalarIfEENS9_IdEENS9_IS5_EEb
                                        ; -- End function
	.set _ZN9rocsparseL12csrilu0_hashILj256ELj64ELj4E21rocsparse_complex_numIdEEEviPKiS4_PT2_S4_PiS4_S7_S7_d21rocsparse_index_base_imNS_24const_host_device_scalarIfEENS9_IdEENS9_IS5_EEb.num_vgpr, 39
	.set _ZN9rocsparseL12csrilu0_hashILj256ELj64ELj4E21rocsparse_complex_numIdEEEviPKiS4_PT2_S4_PiS4_S7_S7_d21rocsparse_index_base_imNS_24const_host_device_scalarIfEENS9_IdEENS9_IS5_EEb.num_agpr, 0
	.set _ZN9rocsparseL12csrilu0_hashILj256ELj64ELj4E21rocsparse_complex_numIdEEEviPKiS4_PT2_S4_PiS4_S7_S7_d21rocsparse_index_base_imNS_24const_host_device_scalarIfEENS9_IdEENS9_IS5_EEb.numbered_sgpr, 40
	.set _ZN9rocsparseL12csrilu0_hashILj256ELj64ELj4E21rocsparse_complex_numIdEEEviPKiS4_PT2_S4_PiS4_S7_S7_d21rocsparse_index_base_imNS_24const_host_device_scalarIfEENS9_IdEENS9_IS5_EEb.num_named_barrier, 0
	.set _ZN9rocsparseL12csrilu0_hashILj256ELj64ELj4E21rocsparse_complex_numIdEEEviPKiS4_PT2_S4_PiS4_S7_S7_d21rocsparse_index_base_imNS_24const_host_device_scalarIfEENS9_IdEENS9_IS5_EEb.private_seg_size, 16
	.set _ZN9rocsparseL12csrilu0_hashILj256ELj64ELj4E21rocsparse_complex_numIdEEEviPKiS4_PT2_S4_PiS4_S7_S7_d21rocsparse_index_base_imNS_24const_host_device_scalarIfEENS9_IdEENS9_IS5_EEb.uses_vcc, 1
	.set _ZN9rocsparseL12csrilu0_hashILj256ELj64ELj4E21rocsparse_complex_numIdEEEviPKiS4_PT2_S4_PiS4_S7_S7_d21rocsparse_index_base_imNS_24const_host_device_scalarIfEENS9_IdEENS9_IS5_EEb.uses_flat_scratch, 0
	.set _ZN9rocsparseL12csrilu0_hashILj256ELj64ELj4E21rocsparse_complex_numIdEEEviPKiS4_PT2_S4_PiS4_S7_S7_d21rocsparse_index_base_imNS_24const_host_device_scalarIfEENS9_IdEENS9_IS5_EEb.has_dyn_sized_stack, 0
	.set _ZN9rocsparseL12csrilu0_hashILj256ELj64ELj4E21rocsparse_complex_numIdEEEviPKiS4_PT2_S4_PiS4_S7_S7_d21rocsparse_index_base_imNS_24const_host_device_scalarIfEENS9_IdEENS9_IS5_EEb.has_recursion, 0
	.set _ZN9rocsparseL12csrilu0_hashILj256ELj64ELj4E21rocsparse_complex_numIdEEEviPKiS4_PT2_S4_PiS4_S7_S7_d21rocsparse_index_base_imNS_24const_host_device_scalarIfEENS9_IdEENS9_IS5_EEb.has_indirect_call, 0
	.section	.AMDGPU.csdata,"",@progbits
; Kernel info:
; codeLenInByte = 4140
; TotalNumSgprs: 42
; NumVgprs: 39
; ScratchSize: 16
; MemoryBound: 0
; FloatMode: 240
; IeeeMode: 1
; LDSByteSize: 8192 bytes/workgroup (compile time only)
; SGPRBlocks: 0
; VGPRBlocks: 4
; NumSGPRsForWavesPerEU: 42
; NumVGPRsForWavesPerEU: 39
; Occupancy: 16
; WaveLimiterHint : 1
; COMPUTE_PGM_RSRC2:SCRATCH_EN: 1
; COMPUTE_PGM_RSRC2:USER_SGPR: 2
; COMPUTE_PGM_RSRC2:TRAP_HANDLER: 0
; COMPUTE_PGM_RSRC2:TGID_X_EN: 1
; COMPUTE_PGM_RSRC2:TGID_Y_EN: 0
; COMPUTE_PGM_RSRC2:TGID_Z_EN: 0
; COMPUTE_PGM_RSRC2:TIDIG_COMP_CNT: 0
	.section	.text._ZN9rocsparseL12csrilu0_hashILj256ELj64ELj8E21rocsparse_complex_numIdEEEviPKiS4_PT2_S4_PiS4_S7_S7_d21rocsparse_index_base_imNS_24const_host_device_scalarIfEENS9_IdEENS9_IS5_EEb,"axG",@progbits,_ZN9rocsparseL12csrilu0_hashILj256ELj64ELj8E21rocsparse_complex_numIdEEEviPKiS4_PT2_S4_PiS4_S7_S7_d21rocsparse_index_base_imNS_24const_host_device_scalarIfEENS9_IdEENS9_IS5_EEb,comdat
	.globl	_ZN9rocsparseL12csrilu0_hashILj256ELj64ELj8E21rocsparse_complex_numIdEEEviPKiS4_PT2_S4_PiS4_S7_S7_d21rocsparse_index_base_imNS_24const_host_device_scalarIfEENS9_IdEENS9_IS5_EEb ; -- Begin function _ZN9rocsparseL12csrilu0_hashILj256ELj64ELj8E21rocsparse_complex_numIdEEEviPKiS4_PT2_S4_PiS4_S7_S7_d21rocsparse_index_base_imNS_24const_host_device_scalarIfEENS9_IdEENS9_IS5_EEb
	.p2align	8
	.type	_ZN9rocsparseL12csrilu0_hashILj256ELj64ELj8E21rocsparse_complex_numIdEEEviPKiS4_PT2_S4_PiS4_S7_S7_d21rocsparse_index_base_imNS_24const_host_device_scalarIfEENS9_IdEENS9_IS5_EEb,@function
_ZN9rocsparseL12csrilu0_hashILj256ELj64ELj8E21rocsparse_complex_numIdEEEviPKiS4_PT2_S4_PiS4_S7_S7_d21rocsparse_index_base_imNS_24const_host_device_scalarIfEENS9_IdEENS9_IS5_EEb: ; @_ZN9rocsparseL12csrilu0_hashILj256ELj64ELj8E21rocsparse_complex_numIdEEEviPKiS4_PT2_S4_PiS4_S7_S7_d21rocsparse_index_base_imNS_24const_host_device_scalarIfEENS9_IdEENS9_IS5_EEb
; %bb.0:
	s_clause 0x2
	s_load_b96 s[4:6], s[0:1], 0x78
	s_load_b64 s[28:29], s[0:1], 0x50
	s_load_b256 s[20:27], s[0:1], 0x58
	s_wait_kmcnt 0x0
	s_bitcmp1_b32 s6, 0
	s_cselect_b32 s6, -1, 0
	s_cmp_eq_u32 s29, 0
	v_dual_mov_b32 v1, s26 :: v_dual_mov_b32 v2, s27
	s_cselect_b32 s2, -1, 0
	s_cmp_lg_u32 s29, 0
	s_cselect_b32 s7, -1, 0
	s_or_b32 s9, s2, s6
	scratch_store_b64 off, v[1:2], off
	s_xor_b32 s8, s9, -1
	s_and_b32 s2, s2, exec_lo
	s_cselect_b32 s3, 0, s25
	s_cselect_b32 s2, 0, s24
	;; [unrolled: 1-line block ×3, first 2 shown]
	s_and_b32 vcc_lo, exec_lo, s9
	s_cbranch_vccnz .LBB49_2
; %bb.1:
	s_load_b32 s29, s[22:23], 0x0
	s_mov_b64 s[2:3], s[24:25]
.LBB49_2:
	s_delay_alu instid0(SALU_CYCLE_1)
	v_dual_mov_b32 v16, s3 :: v_dual_mov_b32 v15, s2
	s_and_not1_b32 vcc_lo, exec_lo, s8
	s_cbranch_vccnz .LBB49_4
; %bb.3:
	v_dual_mov_b32 v1, s24 :: v_dual_mov_b32 v2, s25
	flat_load_b64 v[15:16], v[1:2]
.LBB49_4:
	v_mov_b32_e32 v3, 0
	v_dual_mov_b32 v4, 0 :: v_dual_mov_b32 v1, 0
	v_cndmask_b32_e64 v25, 0, 1, s7
	v_mov_b32_e32 v2, 0
	s_and_not1_b32 vcc_lo, exec_lo, s7
	s_cbranch_vccnz .LBB49_7
; %bb.5:
	s_mov_b64 s[2:3], src_private_base
	s_xor_b32 s2, s6, -1
	s_and_b32 s6, s6, exec_lo
	s_cselect_b32 s6, 0, s26
	s_wait_alu 0xfffe
	s_cselect_b32 s3, s3, s27
	s_wait_alu 0xfffe
	v_dual_mov_b32 v1, s6 :: v_dual_mov_b32 v2, s3
	v_dual_mov_b32 v3, s4 :: v_dual_mov_b32 v4, s5
	s_and_not1_b32 vcc_lo, exec_lo, s2
	flat_load_b64 v[1:2], v[1:2]
	s_cbranch_vccnz .LBB49_7
; %bb.6:
	v_dual_mov_b32 v3, s26 :: v_dual_mov_b32 v4, s27
	flat_load_b64 v[3:4], v[3:4] offset:8
.LBB49_7:
	v_lshrrev_b32_e32 v5, 6, v0
	v_and_b32_e32 v24, 63, v0
	s_mov_b32 s2, 0
	s_delay_alu instid0(VALU_DEP_2) | instskip(NEXT) | instid1(VALU_DEP_2)
	v_lshlrev_b32_e32 v7, 11, v5
	v_lshlrev_b32_e32 v8, 2, v24
	v_or_b32_e32 v6, 0xffffffc0, v24
	s_delay_alu instid0(VALU_DEP_2)
	v_or3_b32 v7, v7, v8, 0x2000
	v_mov_b32_e32 v8, -1
.LBB49_8:                               ; =>This Inner Loop Header: Depth=1
	s_delay_alu instid0(VALU_DEP_3)
	v_add_nc_u32_e32 v6, 64, v6
	ds_store_b32 v7, v8
	v_add_nc_u32_e32 v7, 0x100, v7
	v_cmp_lt_u32_e32 vcc_lo, 0x1bf, v6
	s_wait_alu 0xfffe
	s_or_b32 s2, vcc_lo, s2
	s_wait_alu 0xfffe
	s_and_not1_b32 exec_lo, exec_lo, s2
	s_cbranch_execnz .LBB49_8
; %bb.9:
	s_or_b32 exec_lo, exec_lo, s2
	s_load_b32 s2, s[0:1], 0x0
	s_lshl_b32 s3, ttmp9, 2
	s_wait_storecnt 0x0
	s_wait_loadcnt_dscnt 0x0
	global_inv scope:SCOPE_SE
	s_wait_alu 0xfffe
	v_and_or_b32 v5, 0x3fffffc, s3, v5
	s_wait_kmcnt 0x0
	s_delay_alu instid0(VALU_DEP_1)
	v_cmp_gt_i32_e32 vcc_lo, s2, v5
	s_and_saveexec_b32 s2, vcc_lo
	s_cbranch_execz .LBB49_87
; %bb.10:
	s_load_b512 s[4:19], s[0:1], 0x8
	v_lshlrev_b32_e32 v5, 2, v5
	v_lshlrev_b32_e32 v0, 5, v0
	s_mov_b32 s2, exec_lo
	s_delay_alu instid0(VALU_DEP_1) | instskip(NEXT) | instid1(VALU_DEP_1)
	v_and_b32_e32 v0, 0x1800, v0
	v_or_b32_e32 v26, 0x2000, v0
	s_wait_kmcnt 0x0
	global_load_b32 v17, v5, s[14:15]
	s_wait_loadcnt 0x0
	v_ashrrev_i32_e32 v18, 31, v17
	s_delay_alu instid0(VALU_DEP_1) | instskip(NEXT) | instid1(VALU_DEP_1)
	v_lshlrev_b64_e32 v[13:14], 2, v[17:18]
	v_add_co_u32 v5, vcc_lo, s4, v13
	s_delay_alu instid0(VALU_DEP_1)
	v_add_co_ci_u32_e64 v6, null, s5, v14, vcc_lo
	v_add_co_u32 v7, vcc_lo, s10, v13
	s_wait_alu 0xfffd
	v_add_co_ci_u32_e64 v8, null, s11, v14, vcc_lo
	global_load_b64 v[5:6], v[5:6], off
	global_load_b32 v18, v[7:8], off
	s_wait_loadcnt 0x1
	v_subrev_nc_u32_e32 v19, s28, v5
	v_subrev_nc_u32_e32 v7, s28, v6
	s_delay_alu instid0(VALU_DEP_2) | instskip(NEXT) | instid1(VALU_DEP_1)
	v_add_nc_u32_e32 v5, v19, v24
	v_cmpx_lt_i32_e64 v5, v7
	s_cbranch_execz .LBB49_33
; %bb.11:
	v_mov_b32_e32 v8, -1
	s_mov_b32 s3, 0
	s_branch .LBB49_13
.LBB49_12:                              ;   in Loop: Header=BB49_13 Depth=1
	s_or_b32 exec_lo, exec_lo, s14
	v_add_nc_u32_e32 v5, 64, v5
	s_delay_alu instid0(VALU_DEP_1)
	v_cmp_ge_i32_e32 vcc_lo, v5, v7
	s_or_b32 s3, vcc_lo, s3
	s_wait_alu 0xfffe
	s_and_not1_b32 exec_lo, exec_lo, s3
	s_cbranch_execz .LBB49_33
.LBB49_13:                              ; =>This Loop Header: Depth=1
                                        ;     Child Loop BB49_22 Depth 2
	v_ashrrev_i32_e32 v6, 31, v5
	s_mov_b32 s14, 0
                                        ; implicit-def: $sgpr15
                                        ; implicit-def: $sgpr22
                                        ; implicit-def: $sgpr23
	s_delay_alu instid0(VALU_DEP_1) | instskip(NEXT) | instid1(VALU_DEP_1)
	v_lshlrev_b64_e32 v[9:10], 2, v[5:6]
	v_add_co_u32 v9, vcc_lo, s6, v9
	s_wait_alu 0xfffd
	s_delay_alu instid0(VALU_DEP_2)
	v_add_co_ci_u32_e64 v10, null, s7, v10, vcc_lo
	global_load_b32 v6, v[9:10], off
	v_mov_b32_e32 v9, 0x200
	s_wait_loadcnt 0x0
	v_mul_lo_u32 v11, 0x67, v6
	s_branch .LBB49_22
.LBB49_14:                              ;   in Loop: Header=BB49_22 Depth=2
	s_or_b32 exec_lo, exec_lo, s36
	s_delay_alu instid0(SALU_CYCLE_1)
	s_or_not1_b32 s34, s34, exec_lo
	s_or_not1_b32 s35, s35, exec_lo
.LBB49_15:                              ;   in Loop: Header=BB49_22 Depth=2
	s_or_b32 exec_lo, exec_lo, s33
	s_delay_alu instid0(SALU_CYCLE_1)
	s_and_b32 s34, s34, exec_lo
	s_or_not1_b32 s33, s35, exec_lo
.LBB49_16:                              ;   in Loop: Header=BB49_22 Depth=2
	s_or_b32 exec_lo, exec_lo, s31
	s_delay_alu instid0(SALU_CYCLE_1)
	s_or_not1_b32 s31, s34, exec_lo
	s_or_not1_b32 s33, s33, exec_lo
.LBB49_17:                              ;   in Loop: Header=BB49_22 Depth=2
	s_or_b32 exec_lo, exec_lo, s30
	s_delay_alu instid0(SALU_CYCLE_1)
	s_and_b32 s31, s31, exec_lo
	s_or_not1_b32 s30, s33, exec_lo
.LBB49_18:                              ;   in Loop: Header=BB49_22 Depth=2
	s_wait_alu 0xfffe
	s_or_b32 exec_lo, exec_lo, s27
	s_delay_alu instid0(SALU_CYCLE_1)
	s_or_not1_b32 s27, s31, exec_lo
	s_or_not1_b32 s30, s30, exec_lo
.LBB49_19:                              ;   in Loop: Header=BB49_22 Depth=2
	s_wait_alu 0xfffe
	s_or_b32 exec_lo, exec_lo, s26
	s_delay_alu instid0(SALU_CYCLE_1)
	s_and_b32 s27, s27, exec_lo
	s_or_not1_b32 s26, s30, exec_lo
.LBB49_20:                              ;   in Loop: Header=BB49_22 Depth=2
	s_wait_alu 0xfffe
	s_or_b32 exec_lo, exec_lo, s25
	s_delay_alu instid0(SALU_CYCLE_1)
	s_and_not1_b32 s23, s23, exec_lo
	s_and_b32 s25, s27, exec_lo
	s_and_not1_b32 s22, s22, exec_lo
	s_and_b32 s26, s26, exec_lo
	s_wait_alu 0xfffe
	s_or_b32 s23, s23, s25
	s_or_b32 s22, s22, s26
.LBB49_21:                              ;   in Loop: Header=BB49_22 Depth=2
	s_wait_alu 0xfffe
	s_or_b32 exec_lo, exec_lo, s24
	s_delay_alu instid0(SALU_CYCLE_1)
	s_and_b32 s24, exec_lo, s22
	s_wait_alu 0xfffe
	s_or_b32 s14, s24, s14
	s_and_not1_b32 s15, s15, exec_lo
	s_and_b32 s24, s23, exec_lo
	s_wait_alu 0xfffe
	s_or_b32 s15, s15, s24
	s_and_not1_b32 exec_lo, exec_lo, s14
	s_cbranch_execz .LBB49_31
.LBB49_22:                              ;   Parent Loop BB49_13 Depth=1
                                        ; =>  This Inner Loop Header: Depth=2
	s_delay_alu instid0(VALU_DEP_1) | instskip(SKIP_3) | instid1(VALU_DEP_1)
	v_and_b32_e32 v10, 0x1ff, v11
	s_or_b32 s23, s23, exec_lo
	s_or_b32 s22, s22, exec_lo
	s_mov_b32 s24, exec_lo
	v_lshl_add_u32 v12, v10, 2, v26
	ds_load_b32 v20, v12
	s_wait_dscnt 0x0
	v_cmpx_ne_u32_e64 v20, v6
	s_cbranch_execz .LBB49_21
; %bb.23:                               ;   in Loop: Header=BB49_22 Depth=2
	ds_cmpstore_rtn_b32 v12, v12, v6, v8
	s_mov_b32 s26, -1
	s_mov_b32 s27, 0
	s_mov_b32 s25, exec_lo
	s_wait_dscnt 0x0
	v_cmpx_ne_u32_e32 -1, v12
	s_cbranch_execz .LBB49_20
; %bb.24:                               ;   in Loop: Header=BB49_22 Depth=2
	v_add_nc_u32_e32 v10, 1, v11
	s_mov_b32 s30, -1
	s_mov_b32 s27, -1
	s_mov_b32 s26, exec_lo
	s_delay_alu instid0(VALU_DEP_1) | instskip(NEXT) | instid1(VALU_DEP_1)
	v_and_b32_e32 v10, 0x1ff, v10
	v_lshl_add_u32 v12, v10, 2, v26
	ds_load_b32 v20, v12
	s_wait_dscnt 0x0
	v_cmpx_ne_u32_e64 v20, v6
	s_cbranch_execz .LBB49_19
; %bb.25:                               ;   in Loop: Header=BB49_22 Depth=2
	ds_cmpstore_rtn_b32 v12, v12, v6, v8
	s_mov_b32 s31, 0
	s_mov_b32 s27, exec_lo
	s_wait_dscnt 0x0
	v_cmpx_ne_u32_e32 -1, v12
	s_cbranch_execz .LBB49_18
; %bb.26:                               ;   in Loop: Header=BB49_22 Depth=2
	v_add_nc_u32_e32 v10, 2, v11
	s_mov_b32 s33, -1
	s_mov_b32 s31, -1
	s_mov_b32 s30, exec_lo
	s_delay_alu instid0(VALU_DEP_1) | instskip(NEXT) | instid1(VALU_DEP_1)
	v_and_b32_e32 v10, 0x1ff, v10
	v_lshl_add_u32 v12, v10, 2, v26
	ds_load_b32 v20, v12
	s_wait_dscnt 0x0
	v_cmpx_ne_u32_e64 v20, v6
	s_cbranch_execz .LBB49_17
; %bb.27:                               ;   in Loop: Header=BB49_22 Depth=2
	ds_cmpstore_rtn_b32 v12, v12, v6, v8
	s_mov_b32 s34, 0
	s_mov_b32 s31, exec_lo
	s_wait_dscnt 0x0
	v_cmpx_ne_u32_e32 -1, v12
	s_cbranch_execz .LBB49_16
; %bb.28:                               ;   in Loop: Header=BB49_22 Depth=2
	v_add_nc_u32_e32 v10, 3, v11
	s_mov_b32 s35, -1
	s_mov_b32 s34, -1
	s_delay_alu instid0(VALU_DEP_1) | instskip(NEXT) | instid1(VALU_DEP_1)
	v_and_b32_e32 v10, 0x1ff, v10
	v_lshl_add_u32 v12, v10, 2, v26
	ds_load_b32 v11, v12
	s_wait_dscnt 0x0
	v_cmp_ne_u32_e32 vcc_lo, v11, v6
                                        ; implicit-def: $vgpr11
	s_and_saveexec_b32 s33, vcc_lo
	s_cbranch_execz .LBB49_15
; %bb.29:                               ;   in Loop: Header=BB49_22 Depth=2
	ds_cmpstore_rtn_b32 v11, v12, v6, v8
	s_mov_b32 s34, 0
	s_wait_dscnt 0x0
	v_cmp_ne_u32_e32 vcc_lo, -1, v11
                                        ; implicit-def: $vgpr11
	s_and_saveexec_b32 s36, vcc_lo
	s_cbranch_execz .LBB49_14
; %bb.30:                               ;   in Loop: Header=BB49_22 Depth=2
	v_add_nc_u32_e32 v9, -4, v9
	v_add_nc_u32_e32 v11, 1, v10
	s_mov_b32 s34, exec_lo
	s_delay_alu instid0(VALU_DEP_2)
	v_cmp_eq_u32_e32 vcc_lo, 0, v9
	s_or_not1_b32 s35, vcc_lo, exec_lo
	s_branch .LBB49_14
.LBB49_31:                              ;   in Loop: Header=BB49_13 Depth=1
	s_or_b32 exec_lo, exec_lo, s14
	s_xor_b32 s14, s15, -1
	s_delay_alu instid0(SALU_CYCLE_1) | instskip(NEXT) | instid1(SALU_CYCLE_1)
	s_and_saveexec_b32 s15, s14
	s_xor_b32 s14, exec_lo, s15
	s_cbranch_execz .LBB49_12
; %bb.32:                               ;   in Loop: Header=BB49_13 Depth=1
	v_lshl_add_u32 v6, v10, 2, v0
	ds_store_b32 v6, v5
	s_branch .LBB49_12
.LBB49_33:
	s_wait_alu 0xfffe
	s_or_b32 exec_lo, exec_lo, s2
	s_delay_alu instid0(SALU_CYCLE_1)
	s_mov_b32 s3, exec_lo
	s_wait_loadcnt_dscnt 0x0
	global_inv scope:SCOPE_SE
	v_cmpx_lt_i32_e64 v19, v18
	s_cbranch_execz .LBB49_63
; %bb.34:
	v_add_nc_u32_e32 v27, 1, v24
	s_mov_b32 s14, 0
	s_branch .LBB49_37
.LBB49_35:                              ;   in Loop: Header=BB49_37 Depth=1
	s_or_b32 exec_lo, exec_lo, s15
	v_add_nc_u32_e32 v19, 1, v19
	s_delay_alu instid0(VALU_DEP_1)
	v_cmp_ge_i32_e32 vcc_lo, v19, v18
	s_or_not1_b32 s15, vcc_lo, exec_lo
.LBB49_36:                              ;   in Loop: Header=BB49_37 Depth=1
	s_wait_alu 0xfffe
	s_or_b32 exec_lo, exec_lo, s2
	s_delay_alu instid0(SALU_CYCLE_1) | instskip(SKIP_2) | instid1(SALU_CYCLE_1)
	s_and_b32 s2, exec_lo, s15
	s_wait_alu 0xfffe
	s_or_b32 s14, s2, s14
	s_and_not1_b32 exec_lo, exec_lo, s14
	s_cbranch_execz .LBB49_63
.LBB49_37:                              ; =>This Loop Header: Depth=1
                                        ;     Child Loop BB49_38 Depth 2
                                        ;     Child Loop BB49_43 Depth 2
                                        ;       Child Loop BB49_52 Depth 3
	v_ashrrev_i32_e32 v20, 31, v19
	s_mov_b32 s2, 0
	s_delay_alu instid0(VALU_DEP_1) | instskip(SKIP_1) | instid1(VALU_DEP_2)
	v_lshlrev_b64_e32 v[5:6], 2, v[19:20]
	v_lshlrev_b64_e32 v[7:8], 4, v[19:20]
	v_add_co_u32 v5, vcc_lo, s6, v5
	s_wait_alu 0xfffd
	s_delay_alu instid0(VALU_DEP_3) | instskip(NEXT) | instid1(VALU_DEP_3)
	v_add_co_ci_u32_e64 v6, null, s7, v6, vcc_lo
	v_add_co_u32 v20, vcc_lo, s8, v7
	s_wait_alu 0xfffd
	v_add_co_ci_u32_e64 v21, null, s9, v8, vcc_lo
	global_load_b32 v5, v[5:6], off
	s_wait_loadcnt 0x0
	v_subrev_nc_u32_e32 v5, s28, v5
	s_delay_alu instid0(VALU_DEP_1) | instskip(NEXT) | instid1(VALU_DEP_1)
	v_ashrrev_i32_e32 v6, 31, v5
	v_lshlrev_b64_e32 v[9:10], 2, v[5:6]
	s_delay_alu instid0(VALU_DEP_1) | instskip(SKIP_1) | instid1(VALU_DEP_2)
	v_add_co_u32 v11, vcc_lo, s4, v9
	s_wait_alu 0xfffd
	v_add_co_ci_u32_e64 v12, null, s5, v10, vcc_lo
	v_add_co_u32 v22, vcc_lo, s10, v9
	s_wait_alu 0xfffd
	v_add_co_ci_u32_e64 v23, null, s11, v10, vcc_lo
	global_load_b128 v[5:8], v[20:21], off
	global_load_b32 v11, v[11:12], off offset:4
	global_load_b32 v12, v[22:23], off
	v_add_co_u32 v9, vcc_lo, s12, v9
	s_wait_alu 0xfffd
	v_add_co_ci_u32_e64 v10, null, s13, v10, vcc_lo
.LBB49_38:                              ;   Parent Loop BB49_37 Depth=1
                                        ; =>  This Inner Loop Header: Depth=2
	global_load_b32 v22, v[9:10], off scope:SCOPE_DEV
	s_wait_loadcnt 0x0
	v_cmp_ne_u32_e32 vcc_lo, 0, v22
	s_wait_alu 0xfffe
	s_or_b32 s2, vcc_lo, s2
	s_wait_alu 0xfffe
	s_and_not1_b32 exec_lo, exec_lo, s2
	s_cbranch_execnz .LBB49_38
; %bb.39:                               ;   in Loop: Header=BB49_37 Depth=1
	s_or_b32 exec_lo, exec_lo, s2
	v_subrev_nc_u32_e32 v28, s28, v11
	v_cmp_eq_u32_e32 vcc_lo, -1, v12
	global_inv scope:SCOPE_DEV
	s_mov_b32 s15, -1
	v_add_nc_u32_e32 v9, -1, v28
	s_wait_alu 0xfffd
	s_delay_alu instid0(VALU_DEP_1) | instskip(NEXT) | instid1(VALU_DEP_1)
	v_cndmask_b32_e32 v22, v12, v9, vcc_lo
	v_ashrrev_i32_e32 v23, 31, v22
	s_delay_alu instid0(VALU_DEP_1) | instskip(NEXT) | instid1(VALU_DEP_1)
	v_lshlrev_b64_e32 v[9:10], 4, v[22:23]
	v_add_co_u32 v9, vcc_lo, s8, v9
	s_wait_alu 0xfffd
	s_delay_alu instid0(VALU_DEP_2)
	v_add_co_ci_u32_e64 v10, null, s9, v10, vcc_lo
	global_load_b128 v[9:12], v[9:10], off
	s_wait_loadcnt 0x0
	v_cmp_neq_f64_e32 vcc_lo, 0, v[9:10]
	v_cmp_neq_f64_e64 s2, 0, v[11:12]
	s_or_b32 s22, vcc_lo, s2
	s_delay_alu instid0(SALU_CYCLE_1)
	s_and_saveexec_b32 s2, s22
	s_cbranch_execz .LBB49_36
; %bb.40:                               ;   in Loop: Header=BB49_37 Depth=1
	v_mul_f64_e32 v[29:30], v[11:12], v[11:12]
	s_mov_b32 s15, exec_lo
	s_delay_alu instid0(VALU_DEP_1) | instskip(NEXT) | instid1(VALU_DEP_1)
	v_fma_f64 v[29:30], v[9:10], v[9:10], v[29:30]
	v_div_scale_f64 v[31:32], null, v[29:30], v[29:30], 1.0
	v_div_scale_f64 v[37:38], vcc_lo, 1.0, v[29:30], 1.0
	s_delay_alu instid0(VALU_DEP_2) | instskip(NEXT) | instid1(TRANS32_DEP_1)
	v_rcp_f64_e32 v[33:34], v[31:32]
	v_fma_f64 v[35:36], -v[31:32], v[33:34], 1.0
	s_delay_alu instid0(VALU_DEP_1) | instskip(NEXT) | instid1(VALU_DEP_1)
	v_fma_f64 v[33:34], v[33:34], v[35:36], v[33:34]
	v_fma_f64 v[35:36], -v[31:32], v[33:34], 1.0
	s_delay_alu instid0(VALU_DEP_1) | instskip(NEXT) | instid1(VALU_DEP_1)
	v_fma_f64 v[33:34], v[33:34], v[35:36], v[33:34]
	v_mul_f64_e32 v[35:36], v[37:38], v[33:34]
	s_delay_alu instid0(VALU_DEP_1) | instskip(SKIP_3) | instid1(VALU_DEP_3)
	v_fma_f64 v[31:32], -v[31:32], v[35:36], v[37:38]
	v_mul_f64_e32 v[37:38], v[7:8], v[11:12]
	v_mul_f64_e64 v[11:12], v[11:12], -v[5:6]
	s_wait_alu 0xfffd
	v_div_fmas_f64 v[31:32], v[31:32], v[33:34], v[35:36]
	s_delay_alu instid0(VALU_DEP_3) | instskip(NEXT) | instid1(VALU_DEP_3)
	v_fma_f64 v[5:6], v[5:6], v[9:10], v[37:38]
	v_fma_f64 v[7:8], v[7:8], v[9:10], v[11:12]
	v_add_nc_u32_e32 v9, v27, v22
	s_delay_alu instid0(VALU_DEP_4) | instskip(NEXT) | instid1(VALU_DEP_1)
	v_div_fixup_f64 v[29:30], v[31:32], v[29:30], 1.0
	v_mul_f64_e32 v[5:6], v[5:6], v[29:30]
	s_delay_alu instid0(VALU_DEP_4)
	v_mul_f64_e32 v[7:8], v[7:8], v[29:30]
	global_store_b128 v[20:21], v[5:8], off
	v_cmpx_lt_i32_e64 v9, v28
	s_cbranch_execz .LBB49_35
; %bb.41:                               ;   in Loop: Header=BB49_37 Depth=1
	s_mov_b32 s22, 0
	s_branch .LBB49_43
.LBB49_42:                              ;   in Loop: Header=BB49_43 Depth=2
	s_or_b32 exec_lo, exec_lo, s23
	v_add_nc_u32_e32 v9, 64, v9
	s_delay_alu instid0(VALU_DEP_1) | instskip(SKIP_1) | instid1(SALU_CYCLE_1)
	v_cmp_ge_i32_e32 vcc_lo, v9, v28
	s_or_b32 s22, vcc_lo, s22
	s_and_not1_b32 exec_lo, exec_lo, s22
	s_cbranch_execz .LBB49_35
.LBB49_43:                              ;   Parent Loop BB49_37 Depth=1
                                        ; =>  This Loop Header: Depth=2
                                        ;       Child Loop BB49_52 Depth 3
	v_ashrrev_i32_e32 v10, 31, v9
	s_mov_b32 s23, 0
                                        ; implicit-def: $sgpr24
                                        ; implicit-def: $sgpr25
                                        ; implicit-def: $sgpr26
	s_delay_alu instid0(VALU_DEP_1) | instskip(NEXT) | instid1(VALU_DEP_1)
	v_lshlrev_b64_e32 v[11:12], 2, v[9:10]
	v_add_co_u32 v11, vcc_lo, s6, v11
	s_wait_alu 0xfffd
	s_delay_alu instid0(VALU_DEP_2)
	v_add_co_ci_u32_e64 v12, null, s7, v12, vcc_lo
	global_load_b32 v11, v[11:12], off
	v_mov_b32_e32 v12, 0x200
	s_wait_loadcnt 0x0
	v_mul_lo_u32 v21, 0x67, v11
	s_branch .LBB49_52
.LBB49_44:                              ;   in Loop: Header=BB49_52 Depth=3
	s_or_b32 exec_lo, exec_lo, s39
	s_delay_alu instid0(SALU_CYCLE_1)
	s_or_not1_b32 s37, s37, exec_lo
	s_or_not1_b32 s38, s38, exec_lo
.LBB49_45:                              ;   in Loop: Header=BB49_52 Depth=3
	s_or_b32 exec_lo, exec_lo, s36
	s_delay_alu instid0(SALU_CYCLE_1)
	s_and_b32 s37, s37, exec_lo
	s_or_not1_b32 s36, s38, exec_lo
.LBB49_46:                              ;   in Loop: Header=BB49_52 Depth=3
	s_or_b32 exec_lo, exec_lo, s35
	s_delay_alu instid0(SALU_CYCLE_1)
	s_or_not1_b32 s35, s37, exec_lo
	s_or_not1_b32 s36, s36, exec_lo
.LBB49_47:                              ;   in Loop: Header=BB49_52 Depth=3
	s_or_b32 exec_lo, exec_lo, s34
	s_delay_alu instid0(SALU_CYCLE_1)
	s_and_b32 s35, s35, exec_lo
	s_or_not1_b32 s34, s36, exec_lo
.LBB49_48:                              ;   in Loop: Header=BB49_52 Depth=3
	s_or_b32 exec_lo, exec_lo, s33
	s_delay_alu instid0(SALU_CYCLE_1)
	s_or_not1_b32 s33, s35, exec_lo
	s_or_not1_b32 s34, s34, exec_lo
.LBB49_49:                              ;   in Loop: Header=BB49_52 Depth=3
	s_or_b32 exec_lo, exec_lo, s31
	s_delay_alu instid0(SALU_CYCLE_1)
	s_and_b32 s33, s33, exec_lo
	s_or_not1_b32 s31, s34, exec_lo
.LBB49_50:                              ;   in Loop: Header=BB49_52 Depth=3
	s_or_b32 exec_lo, exec_lo, s30
	s_wait_alu 0xfffe
	s_and_not1_b32 s26, s26, exec_lo
	s_and_b32 s30, s33, exec_lo
	s_and_not1_b32 s25, s25, exec_lo
	s_and_b32 s31, s31, exec_lo
	s_wait_alu 0xfffe
	s_or_b32 s26, s26, s30
	s_or_b32 s25, s25, s31
.LBB49_51:                              ;   in Loop: Header=BB49_52 Depth=3
	s_wait_alu 0xfffe
	s_or_b32 exec_lo, exec_lo, s27
	s_delay_alu instid0(SALU_CYCLE_1)
	s_and_b32 s27, exec_lo, s25
	s_wait_alu 0xfffe
	s_or_b32 s23, s27, s23
	s_and_not1_b32 s24, s24, exec_lo
	s_and_b32 s27, s26, exec_lo
	s_wait_alu 0xfffe
	s_or_b32 s24, s24, s27
	s_and_not1_b32 exec_lo, exec_lo, s23
	s_cbranch_execz .LBB49_61
.LBB49_52:                              ;   Parent Loop BB49_37 Depth=1
                                        ;     Parent Loop BB49_43 Depth=2
                                        ; =>    This Inner Loop Header: Depth=3
	s_delay_alu instid0(VALU_DEP_1) | instskip(SKIP_3) | instid1(VALU_DEP_1)
	v_and_b32_e32 v20, 0x1ff, v21
	s_or_b32 s26, s26, exec_lo
	s_or_b32 s25, s25, exec_lo
	s_mov_b32 s27, exec_lo
	v_lshl_add_u32 v22, v20, 2, v26
	ds_load_b32 v22, v22
	s_wait_dscnt 0x0
	v_cmpx_ne_u32_e32 -1, v22
	s_cbranch_execz .LBB49_51
; %bb.53:                               ;   in Loop: Header=BB49_52 Depth=3
	s_mov_b32 s31, -1
	s_mov_b32 s33, 0
	s_mov_b32 s30, exec_lo
	v_cmpx_ne_u32_e64 v22, v11
	s_cbranch_execz .LBB49_50
; %bb.54:                               ;   in Loop: Header=BB49_52 Depth=3
	v_add_nc_u32_e32 v20, 1, v21
	s_mov_b32 s34, -1
	s_mov_b32 s33, -1
	s_mov_b32 s31, exec_lo
	s_delay_alu instid0(VALU_DEP_1) | instskip(NEXT) | instid1(VALU_DEP_1)
	v_and_b32_e32 v20, 0x1ff, v20
	v_lshl_add_u32 v22, v20, 2, v26
	ds_load_b32 v22, v22
	s_wait_dscnt 0x0
	v_cmpx_ne_u32_e32 -1, v22
	s_cbranch_execz .LBB49_49
; %bb.55:                               ;   in Loop: Header=BB49_52 Depth=3
	s_mov_b32 s35, 0
	s_mov_b32 s33, exec_lo
	v_cmpx_ne_u32_e64 v22, v11
	s_cbranch_execz .LBB49_48
; %bb.56:                               ;   in Loop: Header=BB49_52 Depth=3
	v_add_nc_u32_e32 v20, 2, v21
	s_mov_b32 s36, -1
	s_mov_b32 s35, -1
	s_mov_b32 s34, exec_lo
	s_delay_alu instid0(VALU_DEP_1) | instskip(NEXT) | instid1(VALU_DEP_1)
	v_and_b32_e32 v20, 0x1ff, v20
	v_lshl_add_u32 v22, v20, 2, v26
	ds_load_b32 v22, v22
	s_wait_dscnt 0x0
	v_cmpx_ne_u32_e32 -1, v22
	s_cbranch_execz .LBB49_47
; %bb.57:                               ;   in Loop: Header=BB49_52 Depth=3
	s_mov_b32 s37, 0
	s_mov_b32 s35, exec_lo
	v_cmpx_ne_u32_e64 v22, v11
	s_cbranch_execz .LBB49_46
; %bb.58:                               ;   in Loop: Header=BB49_52 Depth=3
	v_add_nc_u32_e32 v20, 3, v21
	s_mov_b32 s38, -1
	s_mov_b32 s37, -1
	s_mov_b32 s36, exec_lo
	s_delay_alu instid0(VALU_DEP_1) | instskip(NEXT) | instid1(VALU_DEP_1)
	v_and_b32_e32 v20, 0x1ff, v20
	v_lshl_add_u32 v21, v20, 2, v26
	ds_load_b32 v22, v21
                                        ; implicit-def: $vgpr21
	s_wait_dscnt 0x0
	v_cmpx_ne_u32_e32 -1, v22
	s_cbranch_execz .LBB49_45
; %bb.59:                               ;   in Loop: Header=BB49_52 Depth=3
	s_mov_b32 s37, 0
	s_mov_b32 s39, exec_lo
                                        ; implicit-def: $vgpr21
	v_cmpx_ne_u32_e64 v22, v11
	s_cbranch_execz .LBB49_44
; %bb.60:                               ;   in Loop: Header=BB49_52 Depth=3
	v_add_nc_u32_e32 v12, -4, v12
	v_add_nc_u32_e32 v21, 1, v20
	s_mov_b32 s37, exec_lo
	s_delay_alu instid0(VALU_DEP_2)
	v_cmp_eq_u32_e32 vcc_lo, 0, v12
	s_or_not1_b32 s38, vcc_lo, exec_lo
	s_branch .LBB49_44
.LBB49_61:                              ;   in Loop: Header=BB49_43 Depth=2
	s_or_b32 exec_lo, exec_lo, s23
	s_wait_alu 0xfffe
	s_xor_b32 s23, s24, -1
	s_delay_alu instid0(SALU_CYCLE_1)
	s_and_saveexec_b32 s24, s23
	s_wait_alu 0xfffe
	s_xor_b32 s23, exec_lo, s24
	s_cbranch_execz .LBB49_42
; %bb.62:                               ;   in Loop: Header=BB49_43 Depth=2
	v_lshl_add_u32 v11, v20, 2, v0
	v_lshlrev_b64_e32 v[20:21], 4, v[9:10]
	ds_load_b32 v11, v11
	v_add_co_u32 v20, vcc_lo, s8, v20
	s_wait_alu 0xfffd
	v_add_co_ci_u32_e64 v21, null, s9, v21, vcc_lo
	s_wait_dscnt 0x0
	v_ashrrev_i32_e32 v12, 31, v11
	s_delay_alu instid0(VALU_DEP_1) | instskip(NEXT) | instid1(VALU_DEP_1)
	v_lshlrev_b64_e32 v[10:11], 4, v[11:12]
	v_add_co_u32 v10, vcc_lo, s8, v10
	s_wait_alu 0xfffd
	s_delay_alu instid0(VALU_DEP_2)
	v_add_co_ci_u32_e64 v11, null, s9, v11, vcc_lo
	s_clause 0x1
	global_load_b128 v[20:23], v[20:21], off
	global_load_b128 v[29:32], v[10:11], off
	s_wait_loadcnt 0x0
	v_fma_f64 v[29:30], -v[5:6], v[20:21], v[29:30]
	v_fma_f64 v[31:32], -v[7:8], v[20:21], v[31:32]
	s_delay_alu instid0(VALU_DEP_2) | instskip(NEXT) | instid1(VALU_DEP_2)
	v_fma_f64 v[20:21], v[7:8], v[22:23], v[29:30]
	v_fma_f64 v[22:23], -v[5:6], v[22:23], v[31:32]
	global_store_b128 v[10:11], v[20:23], off
	s_branch .LBB49_42
.LBB49_63:
	s_wait_alu 0xfffe
	s_or_b32 exec_lo, exec_lo, s3
	s_delay_alu instid0(SALU_CYCLE_1)
	s_mov_b32 s3, exec_lo
	s_wait_loadcnt 0x0
	s_wait_storecnt 0x0
	global_inv scope:SCOPE_SE
	v_cmpx_lt_i32_e32 -1, v18
	s_cbranch_execz .LBB49_85
; %bb.64:
	v_mov_b32_e32 v19, 0
	s_mov_b32 s2, exec_lo
	s_delay_alu instid0(VALU_DEP_1) | instskip(NEXT) | instid1(VALU_DEP_1)
	v_lshlrev_b64_e32 v[5:6], 4, v[18:19]
	v_add_co_u32 v9, vcc_lo, s8, v5
	s_wait_alu 0xfffd
	s_delay_alu instid0(VALU_DEP_2)
	v_add_co_ci_u32_e64 v10, null, s9, v6, vcc_lo
	global_load_b128 v[5:8], v[9:10], off
	s_wait_loadcnt 0x0
	v_cmp_gt_f64_e32 vcc_lo, 0, v[5:6]
	v_xor_b32_e32 v0, 0x80000000, v6
	v_xor_b32_e32 v18, 0x80000000, v8
	v_dual_mov_b32 v11, v5 :: v_dual_mov_b32 v20, v7
	s_wait_alu 0xfffd
	s_delay_alu instid0(VALU_DEP_3) | instskip(SKIP_3) | instid1(VALU_DEP_1)
	v_cndmask_b32_e32 v12, v6, v0, vcc_lo
	v_cmp_gt_f64_e32 vcc_lo, 0, v[7:8]
	s_wait_alu 0xfffd
	v_cndmask_b32_e32 v21, v8, v18, vcc_lo
                                        ; implicit-def: $vgpr18_vgpr19
	v_cmpx_ngt_f64_e32 v[11:12], v[20:21]
	s_wait_alu 0xfffe
	s_xor_b32 s2, exec_lo, s2
	s_cbranch_execz .LBB49_68
; %bb.65:
	v_mov_b32_e32 v18, 0
	v_mov_b32_e32 v19, 0
	s_mov_b32 s4, exec_lo
	v_cmpx_neq_f64_e32 0, v[7:8]
	s_cbranch_execz .LBB49_67
; %bb.66:
	v_div_scale_f64 v[18:19], null, v[20:21], v[20:21], v[11:12]
	v_div_scale_f64 v[28:29], vcc_lo, v[11:12], v[20:21], v[11:12]
	s_delay_alu instid0(VALU_DEP_2) | instskip(NEXT) | instid1(TRANS32_DEP_1)
	v_rcp_f64_e32 v[22:23], v[18:19]
	v_fma_f64 v[26:27], -v[18:19], v[22:23], 1.0
	s_delay_alu instid0(VALU_DEP_1) | instskip(NEXT) | instid1(VALU_DEP_1)
	v_fma_f64 v[22:23], v[22:23], v[26:27], v[22:23]
	v_fma_f64 v[26:27], -v[18:19], v[22:23], 1.0
	s_delay_alu instid0(VALU_DEP_1) | instskip(NEXT) | instid1(VALU_DEP_1)
	v_fma_f64 v[22:23], v[22:23], v[26:27], v[22:23]
	v_mul_f64_e32 v[26:27], v[28:29], v[22:23]
	s_delay_alu instid0(VALU_DEP_1) | instskip(SKIP_1) | instid1(VALU_DEP_1)
	v_fma_f64 v[18:19], -v[18:19], v[26:27], v[28:29]
	s_wait_alu 0xfffd
	v_div_fmas_f64 v[18:19], v[18:19], v[22:23], v[26:27]
	s_delay_alu instid0(VALU_DEP_1) | instskip(NEXT) | instid1(VALU_DEP_1)
	v_div_fixup_f64 v[11:12], v[18:19], v[20:21], v[11:12]
	v_fma_f64 v[11:12], v[11:12], v[11:12], 1.0
	s_delay_alu instid0(VALU_DEP_1) | instskip(SKIP_2) | instid1(VALU_DEP_1)
	v_cmp_gt_f64_e32 vcc_lo, 0x10000000, v[11:12]
	s_wait_alu 0xfffd
	v_cndmask_b32_e64 v0, 0, 0x100, vcc_lo
	v_ldexp_f64 v[11:12], v[11:12], v0
	v_cndmask_b32_e64 v0, 0, 0xffffff80, vcc_lo
	s_delay_alu instid0(VALU_DEP_2) | instskip(SKIP_1) | instid1(TRANS32_DEP_1)
	v_rsq_f64_e32 v[18:19], v[11:12]
	v_cmp_class_f64_e64 vcc_lo, v[11:12], 0x260
	v_mul_f64_e32 v[22:23], v[11:12], v[18:19]
	v_mul_f64_e32 v[18:19], 0.5, v[18:19]
	s_delay_alu instid0(VALU_DEP_1) | instskip(NEXT) | instid1(VALU_DEP_1)
	v_fma_f64 v[26:27], -v[18:19], v[22:23], 0.5
	v_fma_f64 v[22:23], v[22:23], v[26:27], v[22:23]
	v_fma_f64 v[18:19], v[18:19], v[26:27], v[18:19]
	s_delay_alu instid0(VALU_DEP_2) | instskip(NEXT) | instid1(VALU_DEP_1)
	v_fma_f64 v[26:27], -v[22:23], v[22:23], v[11:12]
	v_fma_f64 v[22:23], v[26:27], v[18:19], v[22:23]
	s_delay_alu instid0(VALU_DEP_1) | instskip(NEXT) | instid1(VALU_DEP_1)
	v_fma_f64 v[26:27], -v[22:23], v[22:23], v[11:12]
	v_fma_f64 v[18:19], v[26:27], v[18:19], v[22:23]
	s_delay_alu instid0(VALU_DEP_1) | instskip(SKIP_1) | instid1(VALU_DEP_1)
	v_ldexp_f64 v[18:19], v[18:19], v0
	s_wait_alu 0xfffd
	v_dual_cndmask_b32 v12, v19, v12 :: v_dual_cndmask_b32 v11, v18, v11
	s_delay_alu instid0(VALU_DEP_1)
	v_mul_f64_e32 v[18:19], v[20:21], v[11:12]
.LBB49_67:
	s_wait_alu 0xfffe
	s_or_b32 exec_lo, exec_lo, s4
                                        ; implicit-def: $vgpr11_vgpr12
                                        ; implicit-def: $vgpr20_vgpr21
.LBB49_68:
	s_wait_alu 0xfffe
	s_and_not1_saveexec_b32 s2, s2
	s_cbranch_execz .LBB49_70
; %bb.69:
	v_div_scale_f64 v[18:19], null, v[11:12], v[11:12], v[20:21]
	v_div_scale_f64 v[28:29], vcc_lo, v[20:21], v[11:12], v[20:21]
	s_delay_alu instid0(VALU_DEP_2) | instskip(NEXT) | instid1(TRANS32_DEP_1)
	v_rcp_f64_e32 v[22:23], v[18:19]
	v_fma_f64 v[26:27], -v[18:19], v[22:23], 1.0
	s_delay_alu instid0(VALU_DEP_1) | instskip(NEXT) | instid1(VALU_DEP_1)
	v_fma_f64 v[22:23], v[22:23], v[26:27], v[22:23]
	v_fma_f64 v[26:27], -v[18:19], v[22:23], 1.0
	s_delay_alu instid0(VALU_DEP_1) | instskip(NEXT) | instid1(VALU_DEP_1)
	v_fma_f64 v[22:23], v[22:23], v[26:27], v[22:23]
	v_mul_f64_e32 v[26:27], v[28:29], v[22:23]
	s_delay_alu instid0(VALU_DEP_1) | instskip(SKIP_1) | instid1(VALU_DEP_1)
	v_fma_f64 v[18:19], -v[18:19], v[26:27], v[28:29]
	s_wait_alu 0xfffd
	v_div_fmas_f64 v[18:19], v[18:19], v[22:23], v[26:27]
	s_delay_alu instid0(VALU_DEP_1) | instskip(NEXT) | instid1(VALU_DEP_1)
	v_div_fixup_f64 v[18:19], v[18:19], v[11:12], v[20:21]
	v_fma_f64 v[18:19], v[18:19], v[18:19], 1.0
	s_delay_alu instid0(VALU_DEP_1) | instskip(SKIP_2) | instid1(VALU_DEP_1)
	v_cmp_gt_f64_e32 vcc_lo, 0x10000000, v[18:19]
	s_wait_alu 0xfffd
	v_cndmask_b32_e64 v0, 0, 0x100, vcc_lo
	v_ldexp_f64 v[18:19], v[18:19], v0
	v_cndmask_b32_e64 v0, 0, 0xffffff80, vcc_lo
	s_delay_alu instid0(VALU_DEP_2) | instskip(SKIP_1) | instid1(TRANS32_DEP_1)
	v_rsq_f64_e32 v[20:21], v[18:19]
	v_cmp_class_f64_e64 vcc_lo, v[18:19], 0x260
	v_mul_f64_e32 v[22:23], v[18:19], v[20:21]
	v_mul_f64_e32 v[20:21], 0.5, v[20:21]
	s_delay_alu instid0(VALU_DEP_1) | instskip(NEXT) | instid1(VALU_DEP_1)
	v_fma_f64 v[26:27], -v[20:21], v[22:23], 0.5
	v_fma_f64 v[22:23], v[22:23], v[26:27], v[22:23]
	v_fma_f64 v[20:21], v[20:21], v[26:27], v[20:21]
	s_delay_alu instid0(VALU_DEP_2) | instskip(NEXT) | instid1(VALU_DEP_1)
	v_fma_f64 v[26:27], -v[22:23], v[22:23], v[18:19]
	v_fma_f64 v[22:23], v[26:27], v[20:21], v[22:23]
	s_delay_alu instid0(VALU_DEP_1) | instskip(NEXT) | instid1(VALU_DEP_1)
	v_fma_f64 v[26:27], -v[22:23], v[22:23], v[18:19]
	v_fma_f64 v[20:21], v[26:27], v[20:21], v[22:23]
	s_delay_alu instid0(VALU_DEP_1) | instskip(SKIP_1) | instid1(VALU_DEP_1)
	v_ldexp_f64 v[20:21], v[20:21], v0
	s_wait_alu 0xfffd
	v_dual_cndmask_b32 v19, v21, v19 :: v_dual_cndmask_b32 v18, v20, v18
	s_delay_alu instid0(VALU_DEP_1)
	v_mul_f64_e32 v[18:19], v[11:12], v[18:19]
.LBB49_70:
	s_wait_alu 0xfffe
	s_or_b32 exec_lo, exec_lo, s2
	v_cmp_ne_u32_e32 vcc_lo, 1, v25
	v_cmp_eq_u32_e64 s2, 0, v24
	s_mov_b32 s4, -1
	s_cbranch_vccnz .LBB49_74
; %bb.71:
	v_cvt_f64_f32_e32 v[11:12], s29
	s_cmp_eq_u64 s[20:21], 8
	s_cselect_b32 vcc_lo, -1, 0
	s_wait_alu 0xfffe
	s_delay_alu instid0(VALU_DEP_1) | instskip(NEXT) | instid1(VALU_DEP_1)
	v_dual_cndmask_b32 v12, v12, v16 :: v_dual_cndmask_b32 v11, v11, v15
	v_cmp_le_f64_e32 vcc_lo, v[18:19], v[11:12]
	s_and_b32 s5, s2, vcc_lo
	s_wait_alu 0xfffe
	s_and_saveexec_b32 s4, s5
	s_cbranch_execz .LBB49_73
; %bb.72:
	global_store_b128 v[9:10], v[1:4], off
	s_wait_storecnt 0x0
	global_inv scope:SCOPE_DEV
.LBB49_73:
	s_wait_alu 0xfffe
	s_or_b32 exec_lo, exec_lo, s4
	s_mov_b32 s4, 0
.LBB49_74:
	s_wait_alu 0xfffe
	s_and_not1_b32 vcc_lo, exec_lo, s4
	s_wait_alu 0xfffe
	s_cbranch_vccnz .LBB49_85
; %bb.75:
	s_load_b64 s[0:1], s[0:1], 0x48
	v_add_nc_u32_e32 v0, s28, v17
	s_wait_kmcnt 0x0
	v_cmp_ge_f64_e32 vcc_lo, s[0:1], v[18:19]
	s_and_b32 s1, s2, vcc_lo
	s_wait_alu 0xfffe
	s_and_saveexec_b32 s0, s1
	s_cbranch_execz .LBB49_80
; %bb.76:
	s_mov_b32 s4, exec_lo
	s_brev_b32 s1, -2
.LBB49_77:                              ; =>This Inner Loop Header: Depth=1
	s_wait_alu 0xfffe
	s_ctz_i32_b32 s5, s4
	s_wait_alu 0xfffe
	v_readlane_b32 s6, v0, s5
	s_lshl_b32 s5, 1, s5
	s_wait_alu 0xfffe
	s_and_not1_b32 s4, s4, s5
	s_min_i32 s1, s1, s6
	s_wait_alu 0xfffe
	s_cmp_lg_u32 s4, 0
	s_cbranch_scc1 .LBB49_77
; %bb.78:
	v_mbcnt_lo_u32_b32 v1, exec_lo, 0
	s_mov_b32 s4, exec_lo
	s_delay_alu instid0(VALU_DEP_1)
	v_cmpx_eq_u32_e32 0, v1
	s_wait_alu 0xfffe
	s_xor_b32 s4, exec_lo, s4
	s_cbranch_execz .LBB49_80
; %bb.79:
	v_dual_mov_b32 v1, 0 :: v_dual_mov_b32 v2, s1
	global_atomic_min_i32 v1, v2, s[18:19] scope:SCOPE_DEV
.LBB49_80:
	s_wait_alu 0xfffe
	s_or_b32 exec_lo, exec_lo, s0
	v_cmp_eq_f64_e32 vcc_lo, 0, v[5:6]
	v_cmp_eq_f64_e64 s0, 0, v[7:8]
	s_and_b32 s0, vcc_lo, s0
	s_wait_alu 0xfffe
	s_and_b32 s0, s2, s0
	s_wait_alu 0xfffe
	s_and_b32 exec_lo, exec_lo, s0
	s_cbranch_execz .LBB49_85
; %bb.81:
	s_mov_b32 s1, exec_lo
	s_brev_b32 s0, -2
.LBB49_82:                              ; =>This Inner Loop Header: Depth=1
	s_wait_alu 0xfffe
	s_ctz_i32_b32 s2, s1
	s_wait_alu 0xfffe
	v_readlane_b32 s4, v0, s2
	s_lshl_b32 s2, 1, s2
	s_wait_alu 0xfffe
	s_and_not1_b32 s1, s1, s2
	s_min_i32 s0, s0, s4
	s_wait_alu 0xfffe
	s_cmp_lg_u32 s1, 0
	s_cbranch_scc1 .LBB49_82
; %bb.83:
	v_mbcnt_lo_u32_b32 v0, exec_lo, 0
	s_mov_b32 s1, exec_lo
	s_delay_alu instid0(VALU_DEP_1)
	v_cmpx_eq_u32_e32 0, v0
	s_wait_alu 0xfffe
	s_xor_b32 s1, exec_lo, s1
	s_cbranch_execz .LBB49_85
; %bb.84:
	v_dual_mov_b32 v0, 0 :: v_dual_mov_b32 v1, s0
	global_atomic_min_i32 v0, v1, s[16:17] scope:SCOPE_DEV
.LBB49_85:
	s_wait_alu 0xfffe
	s_or_b32 exec_lo, exec_lo, s3
	v_cmp_eq_u32_e32 vcc_lo, 0, v24
	s_wait_loadcnt 0x0
	s_wait_storecnt 0x0
	global_inv scope:SCOPE_DEV
	s_and_b32 exec_lo, exec_lo, vcc_lo
	s_cbranch_execz .LBB49_87
; %bb.86:
	v_add_co_u32 v0, vcc_lo, s12, v13
	s_wait_alu 0xfffd
	v_add_co_ci_u32_e64 v1, null, s13, v14, vcc_lo
	v_mov_b32_e32 v2, 1
	s_wait_loadcnt 0x0
	global_store_b32 v[0:1], v2, off scope:SCOPE_DEV
.LBB49_87:
	s_endpgm
	.section	.rodata,"a",@progbits
	.p2align	6, 0x0
	.amdhsa_kernel _ZN9rocsparseL12csrilu0_hashILj256ELj64ELj8E21rocsparse_complex_numIdEEEviPKiS4_PT2_S4_PiS4_S7_S7_d21rocsparse_index_base_imNS_24const_host_device_scalarIfEENS9_IdEENS9_IS5_EEb
		.amdhsa_group_segment_fixed_size 16384
		.amdhsa_private_segment_fixed_size 16
		.amdhsa_kernarg_size 132
		.amdhsa_user_sgpr_count 2
		.amdhsa_user_sgpr_dispatch_ptr 0
		.amdhsa_user_sgpr_queue_ptr 0
		.amdhsa_user_sgpr_kernarg_segment_ptr 1
		.amdhsa_user_sgpr_dispatch_id 0
		.amdhsa_user_sgpr_private_segment_size 0
		.amdhsa_wavefront_size32 1
		.amdhsa_uses_dynamic_stack 0
		.amdhsa_enable_private_segment 1
		.amdhsa_system_sgpr_workgroup_id_x 1
		.amdhsa_system_sgpr_workgroup_id_y 0
		.amdhsa_system_sgpr_workgroup_id_z 0
		.amdhsa_system_sgpr_workgroup_info 0
		.amdhsa_system_vgpr_workitem_id 0
		.amdhsa_next_free_vgpr 39
		.amdhsa_next_free_sgpr 40
		.amdhsa_reserve_vcc 1
		.amdhsa_float_round_mode_32 0
		.amdhsa_float_round_mode_16_64 0
		.amdhsa_float_denorm_mode_32 3
		.amdhsa_float_denorm_mode_16_64 3
		.amdhsa_fp16_overflow 0
		.amdhsa_workgroup_processor_mode 1
		.amdhsa_memory_ordered 1
		.amdhsa_forward_progress 1
		.amdhsa_inst_pref_size 33
		.amdhsa_round_robin_scheduling 0
		.amdhsa_exception_fp_ieee_invalid_op 0
		.amdhsa_exception_fp_denorm_src 0
		.amdhsa_exception_fp_ieee_div_zero 0
		.amdhsa_exception_fp_ieee_overflow 0
		.amdhsa_exception_fp_ieee_underflow 0
		.amdhsa_exception_fp_ieee_inexact 0
		.amdhsa_exception_int_div_zero 0
	.end_amdhsa_kernel
	.section	.text._ZN9rocsparseL12csrilu0_hashILj256ELj64ELj8E21rocsparse_complex_numIdEEEviPKiS4_PT2_S4_PiS4_S7_S7_d21rocsparse_index_base_imNS_24const_host_device_scalarIfEENS9_IdEENS9_IS5_EEb,"axG",@progbits,_ZN9rocsparseL12csrilu0_hashILj256ELj64ELj8E21rocsparse_complex_numIdEEEviPKiS4_PT2_S4_PiS4_S7_S7_d21rocsparse_index_base_imNS_24const_host_device_scalarIfEENS9_IdEENS9_IS5_EEb,comdat
.Lfunc_end49:
	.size	_ZN9rocsparseL12csrilu0_hashILj256ELj64ELj8E21rocsparse_complex_numIdEEEviPKiS4_PT2_S4_PiS4_S7_S7_d21rocsparse_index_base_imNS_24const_host_device_scalarIfEENS9_IdEENS9_IS5_EEb, .Lfunc_end49-_ZN9rocsparseL12csrilu0_hashILj256ELj64ELj8E21rocsparse_complex_numIdEEEviPKiS4_PT2_S4_PiS4_S7_S7_d21rocsparse_index_base_imNS_24const_host_device_scalarIfEENS9_IdEENS9_IS5_EEb
                                        ; -- End function
	.set _ZN9rocsparseL12csrilu0_hashILj256ELj64ELj8E21rocsparse_complex_numIdEEEviPKiS4_PT2_S4_PiS4_S7_S7_d21rocsparse_index_base_imNS_24const_host_device_scalarIfEENS9_IdEENS9_IS5_EEb.num_vgpr, 39
	.set _ZN9rocsparseL12csrilu0_hashILj256ELj64ELj8E21rocsparse_complex_numIdEEEviPKiS4_PT2_S4_PiS4_S7_S7_d21rocsparse_index_base_imNS_24const_host_device_scalarIfEENS9_IdEENS9_IS5_EEb.num_agpr, 0
	.set _ZN9rocsparseL12csrilu0_hashILj256ELj64ELj8E21rocsparse_complex_numIdEEEviPKiS4_PT2_S4_PiS4_S7_S7_d21rocsparse_index_base_imNS_24const_host_device_scalarIfEENS9_IdEENS9_IS5_EEb.numbered_sgpr, 40
	.set _ZN9rocsparseL12csrilu0_hashILj256ELj64ELj8E21rocsparse_complex_numIdEEEviPKiS4_PT2_S4_PiS4_S7_S7_d21rocsparse_index_base_imNS_24const_host_device_scalarIfEENS9_IdEENS9_IS5_EEb.num_named_barrier, 0
	.set _ZN9rocsparseL12csrilu0_hashILj256ELj64ELj8E21rocsparse_complex_numIdEEEviPKiS4_PT2_S4_PiS4_S7_S7_d21rocsparse_index_base_imNS_24const_host_device_scalarIfEENS9_IdEENS9_IS5_EEb.private_seg_size, 16
	.set _ZN9rocsparseL12csrilu0_hashILj256ELj64ELj8E21rocsparse_complex_numIdEEEviPKiS4_PT2_S4_PiS4_S7_S7_d21rocsparse_index_base_imNS_24const_host_device_scalarIfEENS9_IdEENS9_IS5_EEb.uses_vcc, 1
	.set _ZN9rocsparseL12csrilu0_hashILj256ELj64ELj8E21rocsparse_complex_numIdEEEviPKiS4_PT2_S4_PiS4_S7_S7_d21rocsparse_index_base_imNS_24const_host_device_scalarIfEENS9_IdEENS9_IS5_EEb.uses_flat_scratch, 0
	.set _ZN9rocsparseL12csrilu0_hashILj256ELj64ELj8E21rocsparse_complex_numIdEEEviPKiS4_PT2_S4_PiS4_S7_S7_d21rocsparse_index_base_imNS_24const_host_device_scalarIfEENS9_IdEENS9_IS5_EEb.has_dyn_sized_stack, 0
	.set _ZN9rocsparseL12csrilu0_hashILj256ELj64ELj8E21rocsparse_complex_numIdEEEviPKiS4_PT2_S4_PiS4_S7_S7_d21rocsparse_index_base_imNS_24const_host_device_scalarIfEENS9_IdEENS9_IS5_EEb.has_recursion, 0
	.set _ZN9rocsparseL12csrilu0_hashILj256ELj64ELj8E21rocsparse_complex_numIdEEEviPKiS4_PT2_S4_PiS4_S7_S7_d21rocsparse_index_base_imNS_24const_host_device_scalarIfEENS9_IdEENS9_IS5_EEb.has_indirect_call, 0
	.section	.AMDGPU.csdata,"",@progbits
; Kernel info:
; codeLenInByte = 4140
; TotalNumSgprs: 42
; NumVgprs: 39
; ScratchSize: 16
; MemoryBound: 0
; FloatMode: 240
; IeeeMode: 1
; LDSByteSize: 16384 bytes/workgroup (compile time only)
; SGPRBlocks: 0
; VGPRBlocks: 4
; NumSGPRsForWavesPerEU: 42
; NumVGPRsForWavesPerEU: 39
; Occupancy: 16
; WaveLimiterHint : 1
; COMPUTE_PGM_RSRC2:SCRATCH_EN: 1
; COMPUTE_PGM_RSRC2:USER_SGPR: 2
; COMPUTE_PGM_RSRC2:TRAP_HANDLER: 0
; COMPUTE_PGM_RSRC2:TGID_X_EN: 1
; COMPUTE_PGM_RSRC2:TGID_Y_EN: 0
; COMPUTE_PGM_RSRC2:TGID_Z_EN: 0
; COMPUTE_PGM_RSRC2:TIDIG_COMP_CNT: 0
	.section	.text._ZN9rocsparseL12csrilu0_hashILj256ELj64ELj16E21rocsparse_complex_numIdEEEviPKiS4_PT2_S4_PiS4_S7_S7_d21rocsparse_index_base_imNS_24const_host_device_scalarIfEENS9_IdEENS9_IS5_EEb,"axG",@progbits,_ZN9rocsparseL12csrilu0_hashILj256ELj64ELj16E21rocsparse_complex_numIdEEEviPKiS4_PT2_S4_PiS4_S7_S7_d21rocsparse_index_base_imNS_24const_host_device_scalarIfEENS9_IdEENS9_IS5_EEb,comdat
	.globl	_ZN9rocsparseL12csrilu0_hashILj256ELj64ELj16E21rocsparse_complex_numIdEEEviPKiS4_PT2_S4_PiS4_S7_S7_d21rocsparse_index_base_imNS_24const_host_device_scalarIfEENS9_IdEENS9_IS5_EEb ; -- Begin function _ZN9rocsparseL12csrilu0_hashILj256ELj64ELj16E21rocsparse_complex_numIdEEEviPKiS4_PT2_S4_PiS4_S7_S7_d21rocsparse_index_base_imNS_24const_host_device_scalarIfEENS9_IdEENS9_IS5_EEb
	.p2align	8
	.type	_ZN9rocsparseL12csrilu0_hashILj256ELj64ELj16E21rocsparse_complex_numIdEEEviPKiS4_PT2_S4_PiS4_S7_S7_d21rocsparse_index_base_imNS_24const_host_device_scalarIfEENS9_IdEENS9_IS5_EEb,@function
_ZN9rocsparseL12csrilu0_hashILj256ELj64ELj16E21rocsparse_complex_numIdEEEviPKiS4_PT2_S4_PiS4_S7_S7_d21rocsparse_index_base_imNS_24const_host_device_scalarIfEENS9_IdEENS9_IS5_EEb: ; @_ZN9rocsparseL12csrilu0_hashILj256ELj64ELj16E21rocsparse_complex_numIdEEEviPKiS4_PT2_S4_PiS4_S7_S7_d21rocsparse_index_base_imNS_24const_host_device_scalarIfEENS9_IdEENS9_IS5_EEb
; %bb.0:
	s_clause 0x2
	s_load_b96 s[4:6], s[0:1], 0x78
	s_load_b64 s[28:29], s[0:1], 0x50
	s_load_b256 s[20:27], s[0:1], 0x58
	s_wait_kmcnt 0x0
	s_bitcmp1_b32 s6, 0
	s_cselect_b32 s6, -1, 0
	s_cmp_eq_u32 s29, 0
	v_dual_mov_b32 v1, s26 :: v_dual_mov_b32 v2, s27
	s_cselect_b32 s2, -1, 0
	s_cmp_lg_u32 s29, 0
	s_cselect_b32 s7, -1, 0
	s_or_b32 s9, s2, s6
	scratch_store_b64 off, v[1:2], off
	s_xor_b32 s8, s9, -1
	s_and_b32 s2, s2, exec_lo
	s_cselect_b32 s3, 0, s25
	s_cselect_b32 s2, 0, s24
	;; [unrolled: 1-line block ×3, first 2 shown]
	s_and_b32 vcc_lo, exec_lo, s9
	s_cbranch_vccnz .LBB50_2
; %bb.1:
	s_load_b32 s29, s[22:23], 0x0
	s_mov_b64 s[2:3], s[24:25]
.LBB50_2:
	s_delay_alu instid0(SALU_CYCLE_1)
	v_dual_mov_b32 v16, s3 :: v_dual_mov_b32 v15, s2
	s_and_not1_b32 vcc_lo, exec_lo, s8
	s_cbranch_vccnz .LBB50_4
; %bb.3:
	v_dual_mov_b32 v1, s24 :: v_dual_mov_b32 v2, s25
	flat_load_b64 v[15:16], v[1:2]
.LBB50_4:
	v_mov_b32_e32 v3, 0
	v_dual_mov_b32 v4, 0 :: v_dual_mov_b32 v1, 0
	v_cndmask_b32_e64 v25, 0, 1, s7
	v_mov_b32_e32 v2, 0
	s_and_not1_b32 vcc_lo, exec_lo, s7
	s_cbranch_vccnz .LBB50_7
; %bb.5:
	s_mov_b64 s[2:3], src_private_base
	s_xor_b32 s2, s6, -1
	s_and_b32 s6, s6, exec_lo
	s_cselect_b32 s6, 0, s26
	s_wait_alu 0xfffe
	s_cselect_b32 s3, s3, s27
	s_wait_alu 0xfffe
	v_dual_mov_b32 v1, s6 :: v_dual_mov_b32 v2, s3
	v_dual_mov_b32 v3, s4 :: v_dual_mov_b32 v4, s5
	s_and_not1_b32 vcc_lo, exec_lo, s2
	flat_load_b64 v[1:2], v[1:2]
	s_cbranch_vccnz .LBB50_7
; %bb.6:
	v_dual_mov_b32 v3, s26 :: v_dual_mov_b32 v4, s27
	flat_load_b64 v[3:4], v[3:4] offset:8
.LBB50_7:
	v_lshrrev_b32_e32 v5, 6, v0
	v_and_b32_e32 v24, 63, v0
	s_mov_b32 s2, 0
	s_delay_alu instid0(VALU_DEP_2) | instskip(NEXT) | instid1(VALU_DEP_2)
	v_lshlrev_b32_e32 v7, 12, v5
	v_lshlrev_b32_e32 v8, 2, v24
	v_or_b32_e32 v6, 0xffffffc0, v24
	s_delay_alu instid0(VALU_DEP_2)
	v_or3_b32 v7, v7, v8, 0x4000
	v_mov_b32_e32 v8, -1
.LBB50_8:                               ; =>This Inner Loop Header: Depth=1
	s_delay_alu instid0(VALU_DEP_3)
	v_add_nc_u32_e32 v6, 64, v6
	ds_store_b32 v7, v8
	v_add_nc_u32_e32 v7, 0x100, v7
	v_cmp_lt_u32_e32 vcc_lo, 0x3bf, v6
	s_wait_alu 0xfffe
	s_or_b32 s2, vcc_lo, s2
	s_wait_alu 0xfffe
	s_and_not1_b32 exec_lo, exec_lo, s2
	s_cbranch_execnz .LBB50_8
; %bb.9:
	s_or_b32 exec_lo, exec_lo, s2
	s_load_b32 s2, s[0:1], 0x0
	s_lshl_b32 s3, ttmp9, 2
	s_wait_storecnt 0x0
	s_wait_loadcnt_dscnt 0x0
	global_inv scope:SCOPE_SE
	s_wait_alu 0xfffe
	v_and_or_b32 v5, 0x3fffffc, s3, v5
	s_wait_kmcnt 0x0
	s_delay_alu instid0(VALU_DEP_1)
	v_cmp_gt_i32_e32 vcc_lo, s2, v5
	s_and_saveexec_b32 s2, vcc_lo
	s_cbranch_execz .LBB50_87
; %bb.10:
	s_load_b512 s[4:19], s[0:1], 0x8
	v_lshlrev_b32_e32 v5, 2, v5
	v_lshlrev_b32_e32 v0, 6, v0
	s_mov_b32 s2, exec_lo
	s_delay_alu instid0(VALU_DEP_1) | instskip(NEXT) | instid1(VALU_DEP_1)
	v_and_b32_e32 v0, 0x3000, v0
	v_or_b32_e32 v26, 0x4000, v0
	s_wait_kmcnt 0x0
	global_load_b32 v17, v5, s[14:15]
	s_wait_loadcnt 0x0
	v_ashrrev_i32_e32 v18, 31, v17
	s_delay_alu instid0(VALU_DEP_1) | instskip(NEXT) | instid1(VALU_DEP_1)
	v_lshlrev_b64_e32 v[13:14], 2, v[17:18]
	v_add_co_u32 v5, vcc_lo, s4, v13
	s_delay_alu instid0(VALU_DEP_1)
	v_add_co_ci_u32_e64 v6, null, s5, v14, vcc_lo
	v_add_co_u32 v7, vcc_lo, s10, v13
	s_wait_alu 0xfffd
	v_add_co_ci_u32_e64 v8, null, s11, v14, vcc_lo
	global_load_b64 v[5:6], v[5:6], off
	global_load_b32 v18, v[7:8], off
	s_wait_loadcnt 0x1
	v_subrev_nc_u32_e32 v19, s28, v5
	v_subrev_nc_u32_e32 v7, s28, v6
	s_delay_alu instid0(VALU_DEP_2) | instskip(NEXT) | instid1(VALU_DEP_1)
	v_add_nc_u32_e32 v5, v19, v24
	v_cmpx_lt_i32_e64 v5, v7
	s_cbranch_execz .LBB50_33
; %bb.11:
	v_mov_b32_e32 v8, -1
	s_mov_b32 s3, 0
	s_branch .LBB50_13
.LBB50_12:                              ;   in Loop: Header=BB50_13 Depth=1
	s_or_b32 exec_lo, exec_lo, s14
	v_add_nc_u32_e32 v5, 64, v5
	s_delay_alu instid0(VALU_DEP_1)
	v_cmp_ge_i32_e32 vcc_lo, v5, v7
	s_or_b32 s3, vcc_lo, s3
	s_wait_alu 0xfffe
	s_and_not1_b32 exec_lo, exec_lo, s3
	s_cbranch_execz .LBB50_33
.LBB50_13:                              ; =>This Loop Header: Depth=1
                                        ;     Child Loop BB50_22 Depth 2
	v_ashrrev_i32_e32 v6, 31, v5
	s_mov_b32 s14, 0
                                        ; implicit-def: $sgpr15
                                        ; implicit-def: $sgpr22
                                        ; implicit-def: $sgpr23
	s_delay_alu instid0(VALU_DEP_1) | instskip(NEXT) | instid1(VALU_DEP_1)
	v_lshlrev_b64_e32 v[9:10], 2, v[5:6]
	v_add_co_u32 v9, vcc_lo, s6, v9
	s_wait_alu 0xfffd
	s_delay_alu instid0(VALU_DEP_2)
	v_add_co_ci_u32_e64 v10, null, s7, v10, vcc_lo
	global_load_b32 v6, v[9:10], off
	v_mov_b32_e32 v9, 0x400
	s_wait_loadcnt 0x0
	v_mul_lo_u32 v11, 0x67, v6
	s_branch .LBB50_22
.LBB50_14:                              ;   in Loop: Header=BB50_22 Depth=2
	s_or_b32 exec_lo, exec_lo, s36
	s_delay_alu instid0(SALU_CYCLE_1)
	s_or_not1_b32 s34, s34, exec_lo
	s_or_not1_b32 s35, s35, exec_lo
.LBB50_15:                              ;   in Loop: Header=BB50_22 Depth=2
	s_or_b32 exec_lo, exec_lo, s33
	s_delay_alu instid0(SALU_CYCLE_1)
	s_and_b32 s34, s34, exec_lo
	s_or_not1_b32 s33, s35, exec_lo
.LBB50_16:                              ;   in Loop: Header=BB50_22 Depth=2
	s_or_b32 exec_lo, exec_lo, s31
	s_delay_alu instid0(SALU_CYCLE_1)
	s_or_not1_b32 s31, s34, exec_lo
	s_or_not1_b32 s33, s33, exec_lo
.LBB50_17:                              ;   in Loop: Header=BB50_22 Depth=2
	s_or_b32 exec_lo, exec_lo, s30
	s_delay_alu instid0(SALU_CYCLE_1)
	s_and_b32 s31, s31, exec_lo
	s_or_not1_b32 s30, s33, exec_lo
.LBB50_18:                              ;   in Loop: Header=BB50_22 Depth=2
	s_wait_alu 0xfffe
	s_or_b32 exec_lo, exec_lo, s27
	s_delay_alu instid0(SALU_CYCLE_1)
	s_or_not1_b32 s27, s31, exec_lo
	s_or_not1_b32 s30, s30, exec_lo
.LBB50_19:                              ;   in Loop: Header=BB50_22 Depth=2
	s_wait_alu 0xfffe
	s_or_b32 exec_lo, exec_lo, s26
	s_delay_alu instid0(SALU_CYCLE_1)
	s_and_b32 s27, s27, exec_lo
	s_or_not1_b32 s26, s30, exec_lo
.LBB50_20:                              ;   in Loop: Header=BB50_22 Depth=2
	s_wait_alu 0xfffe
	s_or_b32 exec_lo, exec_lo, s25
	s_delay_alu instid0(SALU_CYCLE_1)
	s_and_not1_b32 s23, s23, exec_lo
	s_and_b32 s25, s27, exec_lo
	s_and_not1_b32 s22, s22, exec_lo
	s_and_b32 s26, s26, exec_lo
	s_wait_alu 0xfffe
	s_or_b32 s23, s23, s25
	s_or_b32 s22, s22, s26
.LBB50_21:                              ;   in Loop: Header=BB50_22 Depth=2
	s_wait_alu 0xfffe
	s_or_b32 exec_lo, exec_lo, s24
	s_delay_alu instid0(SALU_CYCLE_1)
	s_and_b32 s24, exec_lo, s22
	s_wait_alu 0xfffe
	s_or_b32 s14, s24, s14
	s_and_not1_b32 s15, s15, exec_lo
	s_and_b32 s24, s23, exec_lo
	s_wait_alu 0xfffe
	s_or_b32 s15, s15, s24
	s_and_not1_b32 exec_lo, exec_lo, s14
	s_cbranch_execz .LBB50_31
.LBB50_22:                              ;   Parent Loop BB50_13 Depth=1
                                        ; =>  This Inner Loop Header: Depth=2
	s_delay_alu instid0(VALU_DEP_1) | instskip(SKIP_3) | instid1(VALU_DEP_1)
	v_and_b32_e32 v10, 0x3ff, v11
	s_or_b32 s23, s23, exec_lo
	s_or_b32 s22, s22, exec_lo
	s_mov_b32 s24, exec_lo
	v_lshl_add_u32 v12, v10, 2, v26
	ds_load_b32 v20, v12
	s_wait_dscnt 0x0
	v_cmpx_ne_u32_e64 v20, v6
	s_cbranch_execz .LBB50_21
; %bb.23:                               ;   in Loop: Header=BB50_22 Depth=2
	ds_cmpstore_rtn_b32 v12, v12, v6, v8
	s_mov_b32 s26, -1
	s_mov_b32 s27, 0
	s_mov_b32 s25, exec_lo
	s_wait_dscnt 0x0
	v_cmpx_ne_u32_e32 -1, v12
	s_cbranch_execz .LBB50_20
; %bb.24:                               ;   in Loop: Header=BB50_22 Depth=2
	v_add_nc_u32_e32 v10, 1, v11
	s_mov_b32 s30, -1
	s_mov_b32 s27, -1
	s_mov_b32 s26, exec_lo
	s_delay_alu instid0(VALU_DEP_1) | instskip(NEXT) | instid1(VALU_DEP_1)
	v_and_b32_e32 v10, 0x3ff, v10
	v_lshl_add_u32 v12, v10, 2, v26
	ds_load_b32 v20, v12
	s_wait_dscnt 0x0
	v_cmpx_ne_u32_e64 v20, v6
	s_cbranch_execz .LBB50_19
; %bb.25:                               ;   in Loop: Header=BB50_22 Depth=2
	ds_cmpstore_rtn_b32 v12, v12, v6, v8
	s_mov_b32 s31, 0
	s_mov_b32 s27, exec_lo
	s_wait_dscnt 0x0
	v_cmpx_ne_u32_e32 -1, v12
	s_cbranch_execz .LBB50_18
; %bb.26:                               ;   in Loop: Header=BB50_22 Depth=2
	v_add_nc_u32_e32 v10, 2, v11
	s_mov_b32 s33, -1
	s_mov_b32 s31, -1
	s_mov_b32 s30, exec_lo
	s_delay_alu instid0(VALU_DEP_1) | instskip(NEXT) | instid1(VALU_DEP_1)
	v_and_b32_e32 v10, 0x3ff, v10
	v_lshl_add_u32 v12, v10, 2, v26
	ds_load_b32 v20, v12
	s_wait_dscnt 0x0
	v_cmpx_ne_u32_e64 v20, v6
	s_cbranch_execz .LBB50_17
; %bb.27:                               ;   in Loop: Header=BB50_22 Depth=2
	ds_cmpstore_rtn_b32 v12, v12, v6, v8
	s_mov_b32 s34, 0
	s_mov_b32 s31, exec_lo
	s_wait_dscnt 0x0
	v_cmpx_ne_u32_e32 -1, v12
	s_cbranch_execz .LBB50_16
; %bb.28:                               ;   in Loop: Header=BB50_22 Depth=2
	v_add_nc_u32_e32 v10, 3, v11
	s_mov_b32 s35, -1
	s_mov_b32 s34, -1
	s_delay_alu instid0(VALU_DEP_1) | instskip(NEXT) | instid1(VALU_DEP_1)
	v_and_b32_e32 v10, 0x3ff, v10
	v_lshl_add_u32 v12, v10, 2, v26
	ds_load_b32 v11, v12
	s_wait_dscnt 0x0
	v_cmp_ne_u32_e32 vcc_lo, v11, v6
                                        ; implicit-def: $vgpr11
	s_and_saveexec_b32 s33, vcc_lo
	s_cbranch_execz .LBB50_15
; %bb.29:                               ;   in Loop: Header=BB50_22 Depth=2
	ds_cmpstore_rtn_b32 v11, v12, v6, v8
	s_mov_b32 s34, 0
	s_wait_dscnt 0x0
	v_cmp_ne_u32_e32 vcc_lo, -1, v11
                                        ; implicit-def: $vgpr11
	s_and_saveexec_b32 s36, vcc_lo
	s_cbranch_execz .LBB50_14
; %bb.30:                               ;   in Loop: Header=BB50_22 Depth=2
	v_add_nc_u32_e32 v9, -4, v9
	v_add_nc_u32_e32 v11, 1, v10
	s_mov_b32 s34, exec_lo
	s_delay_alu instid0(VALU_DEP_2)
	v_cmp_eq_u32_e32 vcc_lo, 0, v9
	s_or_not1_b32 s35, vcc_lo, exec_lo
	s_branch .LBB50_14
.LBB50_31:                              ;   in Loop: Header=BB50_13 Depth=1
	s_or_b32 exec_lo, exec_lo, s14
	s_xor_b32 s14, s15, -1
	s_delay_alu instid0(SALU_CYCLE_1) | instskip(NEXT) | instid1(SALU_CYCLE_1)
	s_and_saveexec_b32 s15, s14
	s_xor_b32 s14, exec_lo, s15
	s_cbranch_execz .LBB50_12
; %bb.32:                               ;   in Loop: Header=BB50_13 Depth=1
	v_lshl_add_u32 v6, v10, 2, v0
	ds_store_b32 v6, v5
	s_branch .LBB50_12
.LBB50_33:
	s_wait_alu 0xfffe
	s_or_b32 exec_lo, exec_lo, s2
	s_delay_alu instid0(SALU_CYCLE_1)
	s_mov_b32 s3, exec_lo
	s_wait_loadcnt_dscnt 0x0
	global_inv scope:SCOPE_SE
	v_cmpx_lt_i32_e64 v19, v18
	s_cbranch_execz .LBB50_63
; %bb.34:
	v_add_nc_u32_e32 v27, 1, v24
	s_mov_b32 s14, 0
	s_branch .LBB50_37
.LBB50_35:                              ;   in Loop: Header=BB50_37 Depth=1
	s_or_b32 exec_lo, exec_lo, s15
	v_add_nc_u32_e32 v19, 1, v19
	s_delay_alu instid0(VALU_DEP_1)
	v_cmp_ge_i32_e32 vcc_lo, v19, v18
	s_or_not1_b32 s15, vcc_lo, exec_lo
.LBB50_36:                              ;   in Loop: Header=BB50_37 Depth=1
	s_wait_alu 0xfffe
	s_or_b32 exec_lo, exec_lo, s2
	s_delay_alu instid0(SALU_CYCLE_1) | instskip(SKIP_2) | instid1(SALU_CYCLE_1)
	s_and_b32 s2, exec_lo, s15
	s_wait_alu 0xfffe
	s_or_b32 s14, s2, s14
	s_and_not1_b32 exec_lo, exec_lo, s14
	s_cbranch_execz .LBB50_63
.LBB50_37:                              ; =>This Loop Header: Depth=1
                                        ;     Child Loop BB50_38 Depth 2
                                        ;     Child Loop BB50_43 Depth 2
                                        ;       Child Loop BB50_52 Depth 3
	v_ashrrev_i32_e32 v20, 31, v19
	s_mov_b32 s2, 0
	s_delay_alu instid0(VALU_DEP_1) | instskip(SKIP_1) | instid1(VALU_DEP_2)
	v_lshlrev_b64_e32 v[5:6], 2, v[19:20]
	v_lshlrev_b64_e32 v[7:8], 4, v[19:20]
	v_add_co_u32 v5, vcc_lo, s6, v5
	s_wait_alu 0xfffd
	s_delay_alu instid0(VALU_DEP_3) | instskip(NEXT) | instid1(VALU_DEP_3)
	v_add_co_ci_u32_e64 v6, null, s7, v6, vcc_lo
	v_add_co_u32 v20, vcc_lo, s8, v7
	s_wait_alu 0xfffd
	v_add_co_ci_u32_e64 v21, null, s9, v8, vcc_lo
	global_load_b32 v5, v[5:6], off
	s_wait_loadcnt 0x0
	v_subrev_nc_u32_e32 v5, s28, v5
	s_delay_alu instid0(VALU_DEP_1) | instskip(NEXT) | instid1(VALU_DEP_1)
	v_ashrrev_i32_e32 v6, 31, v5
	v_lshlrev_b64_e32 v[9:10], 2, v[5:6]
	s_delay_alu instid0(VALU_DEP_1) | instskip(SKIP_1) | instid1(VALU_DEP_2)
	v_add_co_u32 v11, vcc_lo, s4, v9
	s_wait_alu 0xfffd
	v_add_co_ci_u32_e64 v12, null, s5, v10, vcc_lo
	v_add_co_u32 v22, vcc_lo, s10, v9
	s_wait_alu 0xfffd
	v_add_co_ci_u32_e64 v23, null, s11, v10, vcc_lo
	global_load_b128 v[5:8], v[20:21], off
	global_load_b32 v11, v[11:12], off offset:4
	global_load_b32 v12, v[22:23], off
	v_add_co_u32 v9, vcc_lo, s12, v9
	s_wait_alu 0xfffd
	v_add_co_ci_u32_e64 v10, null, s13, v10, vcc_lo
.LBB50_38:                              ;   Parent Loop BB50_37 Depth=1
                                        ; =>  This Inner Loop Header: Depth=2
	global_load_b32 v22, v[9:10], off scope:SCOPE_DEV
	s_wait_loadcnt 0x0
	v_cmp_ne_u32_e32 vcc_lo, 0, v22
	s_wait_alu 0xfffe
	s_or_b32 s2, vcc_lo, s2
	s_wait_alu 0xfffe
	s_and_not1_b32 exec_lo, exec_lo, s2
	s_cbranch_execnz .LBB50_38
; %bb.39:                               ;   in Loop: Header=BB50_37 Depth=1
	s_or_b32 exec_lo, exec_lo, s2
	v_subrev_nc_u32_e32 v28, s28, v11
	v_cmp_eq_u32_e32 vcc_lo, -1, v12
	global_inv scope:SCOPE_DEV
	s_mov_b32 s15, -1
	v_add_nc_u32_e32 v9, -1, v28
	s_wait_alu 0xfffd
	s_delay_alu instid0(VALU_DEP_1) | instskip(NEXT) | instid1(VALU_DEP_1)
	v_cndmask_b32_e32 v22, v12, v9, vcc_lo
	v_ashrrev_i32_e32 v23, 31, v22
	s_delay_alu instid0(VALU_DEP_1) | instskip(NEXT) | instid1(VALU_DEP_1)
	v_lshlrev_b64_e32 v[9:10], 4, v[22:23]
	v_add_co_u32 v9, vcc_lo, s8, v9
	s_wait_alu 0xfffd
	s_delay_alu instid0(VALU_DEP_2)
	v_add_co_ci_u32_e64 v10, null, s9, v10, vcc_lo
	global_load_b128 v[9:12], v[9:10], off
	s_wait_loadcnt 0x0
	v_cmp_neq_f64_e32 vcc_lo, 0, v[9:10]
	v_cmp_neq_f64_e64 s2, 0, v[11:12]
	s_or_b32 s22, vcc_lo, s2
	s_delay_alu instid0(SALU_CYCLE_1)
	s_and_saveexec_b32 s2, s22
	s_cbranch_execz .LBB50_36
; %bb.40:                               ;   in Loop: Header=BB50_37 Depth=1
	v_mul_f64_e32 v[29:30], v[11:12], v[11:12]
	s_mov_b32 s15, exec_lo
	s_delay_alu instid0(VALU_DEP_1) | instskip(NEXT) | instid1(VALU_DEP_1)
	v_fma_f64 v[29:30], v[9:10], v[9:10], v[29:30]
	v_div_scale_f64 v[31:32], null, v[29:30], v[29:30], 1.0
	v_div_scale_f64 v[37:38], vcc_lo, 1.0, v[29:30], 1.0
	s_delay_alu instid0(VALU_DEP_2) | instskip(NEXT) | instid1(TRANS32_DEP_1)
	v_rcp_f64_e32 v[33:34], v[31:32]
	v_fma_f64 v[35:36], -v[31:32], v[33:34], 1.0
	s_delay_alu instid0(VALU_DEP_1) | instskip(NEXT) | instid1(VALU_DEP_1)
	v_fma_f64 v[33:34], v[33:34], v[35:36], v[33:34]
	v_fma_f64 v[35:36], -v[31:32], v[33:34], 1.0
	s_delay_alu instid0(VALU_DEP_1) | instskip(NEXT) | instid1(VALU_DEP_1)
	v_fma_f64 v[33:34], v[33:34], v[35:36], v[33:34]
	v_mul_f64_e32 v[35:36], v[37:38], v[33:34]
	s_delay_alu instid0(VALU_DEP_1) | instskip(SKIP_3) | instid1(VALU_DEP_3)
	v_fma_f64 v[31:32], -v[31:32], v[35:36], v[37:38]
	v_mul_f64_e32 v[37:38], v[7:8], v[11:12]
	v_mul_f64_e64 v[11:12], v[11:12], -v[5:6]
	s_wait_alu 0xfffd
	v_div_fmas_f64 v[31:32], v[31:32], v[33:34], v[35:36]
	s_delay_alu instid0(VALU_DEP_3) | instskip(NEXT) | instid1(VALU_DEP_3)
	v_fma_f64 v[5:6], v[5:6], v[9:10], v[37:38]
	v_fma_f64 v[7:8], v[7:8], v[9:10], v[11:12]
	v_add_nc_u32_e32 v9, v27, v22
	s_delay_alu instid0(VALU_DEP_4) | instskip(NEXT) | instid1(VALU_DEP_1)
	v_div_fixup_f64 v[29:30], v[31:32], v[29:30], 1.0
	v_mul_f64_e32 v[5:6], v[5:6], v[29:30]
	s_delay_alu instid0(VALU_DEP_4)
	v_mul_f64_e32 v[7:8], v[7:8], v[29:30]
	global_store_b128 v[20:21], v[5:8], off
	v_cmpx_lt_i32_e64 v9, v28
	s_cbranch_execz .LBB50_35
; %bb.41:                               ;   in Loop: Header=BB50_37 Depth=1
	s_mov_b32 s22, 0
	s_branch .LBB50_43
.LBB50_42:                              ;   in Loop: Header=BB50_43 Depth=2
	s_or_b32 exec_lo, exec_lo, s23
	v_add_nc_u32_e32 v9, 64, v9
	s_delay_alu instid0(VALU_DEP_1) | instskip(SKIP_1) | instid1(SALU_CYCLE_1)
	v_cmp_ge_i32_e32 vcc_lo, v9, v28
	s_or_b32 s22, vcc_lo, s22
	s_and_not1_b32 exec_lo, exec_lo, s22
	s_cbranch_execz .LBB50_35
.LBB50_43:                              ;   Parent Loop BB50_37 Depth=1
                                        ; =>  This Loop Header: Depth=2
                                        ;       Child Loop BB50_52 Depth 3
	v_ashrrev_i32_e32 v10, 31, v9
	s_mov_b32 s23, 0
                                        ; implicit-def: $sgpr24
                                        ; implicit-def: $sgpr25
                                        ; implicit-def: $sgpr26
	s_delay_alu instid0(VALU_DEP_1) | instskip(NEXT) | instid1(VALU_DEP_1)
	v_lshlrev_b64_e32 v[11:12], 2, v[9:10]
	v_add_co_u32 v11, vcc_lo, s6, v11
	s_wait_alu 0xfffd
	s_delay_alu instid0(VALU_DEP_2)
	v_add_co_ci_u32_e64 v12, null, s7, v12, vcc_lo
	global_load_b32 v11, v[11:12], off
	v_mov_b32_e32 v12, 0x400
	s_wait_loadcnt 0x0
	v_mul_lo_u32 v21, 0x67, v11
	s_branch .LBB50_52
.LBB50_44:                              ;   in Loop: Header=BB50_52 Depth=3
	s_or_b32 exec_lo, exec_lo, s39
	s_delay_alu instid0(SALU_CYCLE_1)
	s_or_not1_b32 s37, s37, exec_lo
	s_or_not1_b32 s38, s38, exec_lo
.LBB50_45:                              ;   in Loop: Header=BB50_52 Depth=3
	s_or_b32 exec_lo, exec_lo, s36
	s_delay_alu instid0(SALU_CYCLE_1)
	s_and_b32 s37, s37, exec_lo
	s_or_not1_b32 s36, s38, exec_lo
.LBB50_46:                              ;   in Loop: Header=BB50_52 Depth=3
	s_or_b32 exec_lo, exec_lo, s35
	s_delay_alu instid0(SALU_CYCLE_1)
	s_or_not1_b32 s35, s37, exec_lo
	s_or_not1_b32 s36, s36, exec_lo
.LBB50_47:                              ;   in Loop: Header=BB50_52 Depth=3
	s_or_b32 exec_lo, exec_lo, s34
	s_delay_alu instid0(SALU_CYCLE_1)
	s_and_b32 s35, s35, exec_lo
	s_or_not1_b32 s34, s36, exec_lo
.LBB50_48:                              ;   in Loop: Header=BB50_52 Depth=3
	s_or_b32 exec_lo, exec_lo, s33
	s_delay_alu instid0(SALU_CYCLE_1)
	s_or_not1_b32 s33, s35, exec_lo
	s_or_not1_b32 s34, s34, exec_lo
.LBB50_49:                              ;   in Loop: Header=BB50_52 Depth=3
	s_or_b32 exec_lo, exec_lo, s31
	s_delay_alu instid0(SALU_CYCLE_1)
	s_and_b32 s33, s33, exec_lo
	s_or_not1_b32 s31, s34, exec_lo
.LBB50_50:                              ;   in Loop: Header=BB50_52 Depth=3
	s_or_b32 exec_lo, exec_lo, s30
	s_wait_alu 0xfffe
	s_and_not1_b32 s26, s26, exec_lo
	s_and_b32 s30, s33, exec_lo
	s_and_not1_b32 s25, s25, exec_lo
	s_and_b32 s31, s31, exec_lo
	s_wait_alu 0xfffe
	s_or_b32 s26, s26, s30
	s_or_b32 s25, s25, s31
.LBB50_51:                              ;   in Loop: Header=BB50_52 Depth=3
	s_wait_alu 0xfffe
	s_or_b32 exec_lo, exec_lo, s27
	s_delay_alu instid0(SALU_CYCLE_1)
	s_and_b32 s27, exec_lo, s25
	s_wait_alu 0xfffe
	s_or_b32 s23, s27, s23
	s_and_not1_b32 s24, s24, exec_lo
	s_and_b32 s27, s26, exec_lo
	s_wait_alu 0xfffe
	s_or_b32 s24, s24, s27
	s_and_not1_b32 exec_lo, exec_lo, s23
	s_cbranch_execz .LBB50_61
.LBB50_52:                              ;   Parent Loop BB50_37 Depth=1
                                        ;     Parent Loop BB50_43 Depth=2
                                        ; =>    This Inner Loop Header: Depth=3
	s_delay_alu instid0(VALU_DEP_1) | instskip(SKIP_3) | instid1(VALU_DEP_1)
	v_and_b32_e32 v20, 0x3ff, v21
	s_or_b32 s26, s26, exec_lo
	s_or_b32 s25, s25, exec_lo
	s_mov_b32 s27, exec_lo
	v_lshl_add_u32 v22, v20, 2, v26
	ds_load_b32 v22, v22
	s_wait_dscnt 0x0
	v_cmpx_ne_u32_e32 -1, v22
	s_cbranch_execz .LBB50_51
; %bb.53:                               ;   in Loop: Header=BB50_52 Depth=3
	s_mov_b32 s31, -1
	s_mov_b32 s33, 0
	s_mov_b32 s30, exec_lo
	v_cmpx_ne_u32_e64 v22, v11
	s_cbranch_execz .LBB50_50
; %bb.54:                               ;   in Loop: Header=BB50_52 Depth=3
	v_add_nc_u32_e32 v20, 1, v21
	s_mov_b32 s34, -1
	s_mov_b32 s33, -1
	s_mov_b32 s31, exec_lo
	s_delay_alu instid0(VALU_DEP_1) | instskip(NEXT) | instid1(VALU_DEP_1)
	v_and_b32_e32 v20, 0x3ff, v20
	v_lshl_add_u32 v22, v20, 2, v26
	ds_load_b32 v22, v22
	s_wait_dscnt 0x0
	v_cmpx_ne_u32_e32 -1, v22
	s_cbranch_execz .LBB50_49
; %bb.55:                               ;   in Loop: Header=BB50_52 Depth=3
	s_mov_b32 s35, 0
	s_mov_b32 s33, exec_lo
	v_cmpx_ne_u32_e64 v22, v11
	s_cbranch_execz .LBB50_48
; %bb.56:                               ;   in Loop: Header=BB50_52 Depth=3
	v_add_nc_u32_e32 v20, 2, v21
	s_mov_b32 s36, -1
	s_mov_b32 s35, -1
	s_mov_b32 s34, exec_lo
	s_delay_alu instid0(VALU_DEP_1) | instskip(NEXT) | instid1(VALU_DEP_1)
	v_and_b32_e32 v20, 0x3ff, v20
	v_lshl_add_u32 v22, v20, 2, v26
	ds_load_b32 v22, v22
	s_wait_dscnt 0x0
	v_cmpx_ne_u32_e32 -1, v22
	s_cbranch_execz .LBB50_47
; %bb.57:                               ;   in Loop: Header=BB50_52 Depth=3
	s_mov_b32 s37, 0
	s_mov_b32 s35, exec_lo
	v_cmpx_ne_u32_e64 v22, v11
	s_cbranch_execz .LBB50_46
; %bb.58:                               ;   in Loop: Header=BB50_52 Depth=3
	v_add_nc_u32_e32 v20, 3, v21
	s_mov_b32 s38, -1
	s_mov_b32 s37, -1
	s_mov_b32 s36, exec_lo
	s_delay_alu instid0(VALU_DEP_1) | instskip(NEXT) | instid1(VALU_DEP_1)
	v_and_b32_e32 v20, 0x3ff, v20
	v_lshl_add_u32 v21, v20, 2, v26
	ds_load_b32 v22, v21
                                        ; implicit-def: $vgpr21
	s_wait_dscnt 0x0
	v_cmpx_ne_u32_e32 -1, v22
	s_cbranch_execz .LBB50_45
; %bb.59:                               ;   in Loop: Header=BB50_52 Depth=3
	s_mov_b32 s37, 0
	s_mov_b32 s39, exec_lo
                                        ; implicit-def: $vgpr21
	v_cmpx_ne_u32_e64 v22, v11
	s_cbranch_execz .LBB50_44
; %bb.60:                               ;   in Loop: Header=BB50_52 Depth=3
	v_add_nc_u32_e32 v12, -4, v12
	v_add_nc_u32_e32 v21, 1, v20
	s_mov_b32 s37, exec_lo
	s_delay_alu instid0(VALU_DEP_2)
	v_cmp_eq_u32_e32 vcc_lo, 0, v12
	s_or_not1_b32 s38, vcc_lo, exec_lo
	s_branch .LBB50_44
.LBB50_61:                              ;   in Loop: Header=BB50_43 Depth=2
	s_or_b32 exec_lo, exec_lo, s23
	s_wait_alu 0xfffe
	s_xor_b32 s23, s24, -1
	s_delay_alu instid0(SALU_CYCLE_1)
	s_and_saveexec_b32 s24, s23
	s_wait_alu 0xfffe
	s_xor_b32 s23, exec_lo, s24
	s_cbranch_execz .LBB50_42
; %bb.62:                               ;   in Loop: Header=BB50_43 Depth=2
	v_lshl_add_u32 v11, v20, 2, v0
	v_lshlrev_b64_e32 v[20:21], 4, v[9:10]
	ds_load_b32 v11, v11
	v_add_co_u32 v20, vcc_lo, s8, v20
	s_wait_alu 0xfffd
	v_add_co_ci_u32_e64 v21, null, s9, v21, vcc_lo
	s_wait_dscnt 0x0
	v_ashrrev_i32_e32 v12, 31, v11
	s_delay_alu instid0(VALU_DEP_1) | instskip(NEXT) | instid1(VALU_DEP_1)
	v_lshlrev_b64_e32 v[10:11], 4, v[11:12]
	v_add_co_u32 v10, vcc_lo, s8, v10
	s_wait_alu 0xfffd
	s_delay_alu instid0(VALU_DEP_2)
	v_add_co_ci_u32_e64 v11, null, s9, v11, vcc_lo
	s_clause 0x1
	global_load_b128 v[20:23], v[20:21], off
	global_load_b128 v[29:32], v[10:11], off
	s_wait_loadcnt 0x0
	v_fma_f64 v[29:30], -v[5:6], v[20:21], v[29:30]
	v_fma_f64 v[31:32], -v[7:8], v[20:21], v[31:32]
	s_delay_alu instid0(VALU_DEP_2) | instskip(NEXT) | instid1(VALU_DEP_2)
	v_fma_f64 v[20:21], v[7:8], v[22:23], v[29:30]
	v_fma_f64 v[22:23], -v[5:6], v[22:23], v[31:32]
	global_store_b128 v[10:11], v[20:23], off
	s_branch .LBB50_42
.LBB50_63:
	s_wait_alu 0xfffe
	s_or_b32 exec_lo, exec_lo, s3
	s_delay_alu instid0(SALU_CYCLE_1)
	s_mov_b32 s3, exec_lo
	s_wait_loadcnt 0x0
	s_wait_storecnt 0x0
	global_inv scope:SCOPE_SE
	v_cmpx_lt_i32_e32 -1, v18
	s_cbranch_execz .LBB50_85
; %bb.64:
	v_mov_b32_e32 v19, 0
	s_mov_b32 s2, exec_lo
	s_delay_alu instid0(VALU_DEP_1) | instskip(NEXT) | instid1(VALU_DEP_1)
	v_lshlrev_b64_e32 v[5:6], 4, v[18:19]
	v_add_co_u32 v9, vcc_lo, s8, v5
	s_wait_alu 0xfffd
	s_delay_alu instid0(VALU_DEP_2)
	v_add_co_ci_u32_e64 v10, null, s9, v6, vcc_lo
	global_load_b128 v[5:8], v[9:10], off
	s_wait_loadcnt 0x0
	v_cmp_gt_f64_e32 vcc_lo, 0, v[5:6]
	v_xor_b32_e32 v0, 0x80000000, v6
	v_xor_b32_e32 v18, 0x80000000, v8
	v_dual_mov_b32 v11, v5 :: v_dual_mov_b32 v20, v7
	s_wait_alu 0xfffd
	s_delay_alu instid0(VALU_DEP_3) | instskip(SKIP_3) | instid1(VALU_DEP_1)
	v_cndmask_b32_e32 v12, v6, v0, vcc_lo
	v_cmp_gt_f64_e32 vcc_lo, 0, v[7:8]
	s_wait_alu 0xfffd
	v_cndmask_b32_e32 v21, v8, v18, vcc_lo
                                        ; implicit-def: $vgpr18_vgpr19
	v_cmpx_ngt_f64_e32 v[11:12], v[20:21]
	s_wait_alu 0xfffe
	s_xor_b32 s2, exec_lo, s2
	s_cbranch_execz .LBB50_68
; %bb.65:
	v_mov_b32_e32 v18, 0
	v_mov_b32_e32 v19, 0
	s_mov_b32 s4, exec_lo
	v_cmpx_neq_f64_e32 0, v[7:8]
	s_cbranch_execz .LBB50_67
; %bb.66:
	v_div_scale_f64 v[18:19], null, v[20:21], v[20:21], v[11:12]
	v_div_scale_f64 v[28:29], vcc_lo, v[11:12], v[20:21], v[11:12]
	s_delay_alu instid0(VALU_DEP_2) | instskip(NEXT) | instid1(TRANS32_DEP_1)
	v_rcp_f64_e32 v[22:23], v[18:19]
	v_fma_f64 v[26:27], -v[18:19], v[22:23], 1.0
	s_delay_alu instid0(VALU_DEP_1) | instskip(NEXT) | instid1(VALU_DEP_1)
	v_fma_f64 v[22:23], v[22:23], v[26:27], v[22:23]
	v_fma_f64 v[26:27], -v[18:19], v[22:23], 1.0
	s_delay_alu instid0(VALU_DEP_1) | instskip(NEXT) | instid1(VALU_DEP_1)
	v_fma_f64 v[22:23], v[22:23], v[26:27], v[22:23]
	v_mul_f64_e32 v[26:27], v[28:29], v[22:23]
	s_delay_alu instid0(VALU_DEP_1) | instskip(SKIP_1) | instid1(VALU_DEP_1)
	v_fma_f64 v[18:19], -v[18:19], v[26:27], v[28:29]
	s_wait_alu 0xfffd
	v_div_fmas_f64 v[18:19], v[18:19], v[22:23], v[26:27]
	s_delay_alu instid0(VALU_DEP_1) | instskip(NEXT) | instid1(VALU_DEP_1)
	v_div_fixup_f64 v[11:12], v[18:19], v[20:21], v[11:12]
	v_fma_f64 v[11:12], v[11:12], v[11:12], 1.0
	s_delay_alu instid0(VALU_DEP_1) | instskip(SKIP_2) | instid1(VALU_DEP_1)
	v_cmp_gt_f64_e32 vcc_lo, 0x10000000, v[11:12]
	s_wait_alu 0xfffd
	v_cndmask_b32_e64 v0, 0, 0x100, vcc_lo
	v_ldexp_f64 v[11:12], v[11:12], v0
	v_cndmask_b32_e64 v0, 0, 0xffffff80, vcc_lo
	s_delay_alu instid0(VALU_DEP_2) | instskip(SKIP_1) | instid1(TRANS32_DEP_1)
	v_rsq_f64_e32 v[18:19], v[11:12]
	v_cmp_class_f64_e64 vcc_lo, v[11:12], 0x260
	v_mul_f64_e32 v[22:23], v[11:12], v[18:19]
	v_mul_f64_e32 v[18:19], 0.5, v[18:19]
	s_delay_alu instid0(VALU_DEP_1) | instskip(NEXT) | instid1(VALU_DEP_1)
	v_fma_f64 v[26:27], -v[18:19], v[22:23], 0.5
	v_fma_f64 v[22:23], v[22:23], v[26:27], v[22:23]
	v_fma_f64 v[18:19], v[18:19], v[26:27], v[18:19]
	s_delay_alu instid0(VALU_DEP_2) | instskip(NEXT) | instid1(VALU_DEP_1)
	v_fma_f64 v[26:27], -v[22:23], v[22:23], v[11:12]
	v_fma_f64 v[22:23], v[26:27], v[18:19], v[22:23]
	s_delay_alu instid0(VALU_DEP_1) | instskip(NEXT) | instid1(VALU_DEP_1)
	v_fma_f64 v[26:27], -v[22:23], v[22:23], v[11:12]
	v_fma_f64 v[18:19], v[26:27], v[18:19], v[22:23]
	s_delay_alu instid0(VALU_DEP_1) | instskip(SKIP_1) | instid1(VALU_DEP_1)
	v_ldexp_f64 v[18:19], v[18:19], v0
	s_wait_alu 0xfffd
	v_dual_cndmask_b32 v12, v19, v12 :: v_dual_cndmask_b32 v11, v18, v11
	s_delay_alu instid0(VALU_DEP_1)
	v_mul_f64_e32 v[18:19], v[20:21], v[11:12]
.LBB50_67:
	s_wait_alu 0xfffe
	s_or_b32 exec_lo, exec_lo, s4
                                        ; implicit-def: $vgpr11_vgpr12
                                        ; implicit-def: $vgpr20_vgpr21
.LBB50_68:
	s_wait_alu 0xfffe
	s_and_not1_saveexec_b32 s2, s2
	s_cbranch_execz .LBB50_70
; %bb.69:
	v_div_scale_f64 v[18:19], null, v[11:12], v[11:12], v[20:21]
	v_div_scale_f64 v[28:29], vcc_lo, v[20:21], v[11:12], v[20:21]
	s_delay_alu instid0(VALU_DEP_2) | instskip(NEXT) | instid1(TRANS32_DEP_1)
	v_rcp_f64_e32 v[22:23], v[18:19]
	v_fma_f64 v[26:27], -v[18:19], v[22:23], 1.0
	s_delay_alu instid0(VALU_DEP_1) | instskip(NEXT) | instid1(VALU_DEP_1)
	v_fma_f64 v[22:23], v[22:23], v[26:27], v[22:23]
	v_fma_f64 v[26:27], -v[18:19], v[22:23], 1.0
	s_delay_alu instid0(VALU_DEP_1) | instskip(NEXT) | instid1(VALU_DEP_1)
	v_fma_f64 v[22:23], v[22:23], v[26:27], v[22:23]
	v_mul_f64_e32 v[26:27], v[28:29], v[22:23]
	s_delay_alu instid0(VALU_DEP_1) | instskip(SKIP_1) | instid1(VALU_DEP_1)
	v_fma_f64 v[18:19], -v[18:19], v[26:27], v[28:29]
	s_wait_alu 0xfffd
	v_div_fmas_f64 v[18:19], v[18:19], v[22:23], v[26:27]
	s_delay_alu instid0(VALU_DEP_1) | instskip(NEXT) | instid1(VALU_DEP_1)
	v_div_fixup_f64 v[18:19], v[18:19], v[11:12], v[20:21]
	v_fma_f64 v[18:19], v[18:19], v[18:19], 1.0
	s_delay_alu instid0(VALU_DEP_1) | instskip(SKIP_2) | instid1(VALU_DEP_1)
	v_cmp_gt_f64_e32 vcc_lo, 0x10000000, v[18:19]
	s_wait_alu 0xfffd
	v_cndmask_b32_e64 v0, 0, 0x100, vcc_lo
	v_ldexp_f64 v[18:19], v[18:19], v0
	v_cndmask_b32_e64 v0, 0, 0xffffff80, vcc_lo
	s_delay_alu instid0(VALU_DEP_2) | instskip(SKIP_1) | instid1(TRANS32_DEP_1)
	v_rsq_f64_e32 v[20:21], v[18:19]
	v_cmp_class_f64_e64 vcc_lo, v[18:19], 0x260
	v_mul_f64_e32 v[22:23], v[18:19], v[20:21]
	v_mul_f64_e32 v[20:21], 0.5, v[20:21]
	s_delay_alu instid0(VALU_DEP_1) | instskip(NEXT) | instid1(VALU_DEP_1)
	v_fma_f64 v[26:27], -v[20:21], v[22:23], 0.5
	v_fma_f64 v[22:23], v[22:23], v[26:27], v[22:23]
	v_fma_f64 v[20:21], v[20:21], v[26:27], v[20:21]
	s_delay_alu instid0(VALU_DEP_2) | instskip(NEXT) | instid1(VALU_DEP_1)
	v_fma_f64 v[26:27], -v[22:23], v[22:23], v[18:19]
	v_fma_f64 v[22:23], v[26:27], v[20:21], v[22:23]
	s_delay_alu instid0(VALU_DEP_1) | instskip(NEXT) | instid1(VALU_DEP_1)
	v_fma_f64 v[26:27], -v[22:23], v[22:23], v[18:19]
	v_fma_f64 v[20:21], v[26:27], v[20:21], v[22:23]
	s_delay_alu instid0(VALU_DEP_1) | instskip(SKIP_1) | instid1(VALU_DEP_1)
	v_ldexp_f64 v[20:21], v[20:21], v0
	s_wait_alu 0xfffd
	v_dual_cndmask_b32 v19, v21, v19 :: v_dual_cndmask_b32 v18, v20, v18
	s_delay_alu instid0(VALU_DEP_1)
	v_mul_f64_e32 v[18:19], v[11:12], v[18:19]
.LBB50_70:
	s_wait_alu 0xfffe
	s_or_b32 exec_lo, exec_lo, s2
	v_cmp_ne_u32_e32 vcc_lo, 1, v25
	v_cmp_eq_u32_e64 s2, 0, v24
	s_mov_b32 s4, -1
	s_cbranch_vccnz .LBB50_74
; %bb.71:
	v_cvt_f64_f32_e32 v[11:12], s29
	s_cmp_eq_u64 s[20:21], 8
	s_cselect_b32 vcc_lo, -1, 0
	s_wait_alu 0xfffe
	s_delay_alu instid0(VALU_DEP_1) | instskip(NEXT) | instid1(VALU_DEP_1)
	v_dual_cndmask_b32 v12, v12, v16 :: v_dual_cndmask_b32 v11, v11, v15
	v_cmp_le_f64_e32 vcc_lo, v[18:19], v[11:12]
	s_and_b32 s5, s2, vcc_lo
	s_wait_alu 0xfffe
	s_and_saveexec_b32 s4, s5
	s_cbranch_execz .LBB50_73
; %bb.72:
	global_store_b128 v[9:10], v[1:4], off
	s_wait_storecnt 0x0
	global_inv scope:SCOPE_DEV
.LBB50_73:
	s_wait_alu 0xfffe
	s_or_b32 exec_lo, exec_lo, s4
	s_mov_b32 s4, 0
.LBB50_74:
	s_wait_alu 0xfffe
	s_and_not1_b32 vcc_lo, exec_lo, s4
	s_wait_alu 0xfffe
	s_cbranch_vccnz .LBB50_85
; %bb.75:
	s_load_b64 s[0:1], s[0:1], 0x48
	v_add_nc_u32_e32 v0, s28, v17
	s_wait_kmcnt 0x0
	v_cmp_ge_f64_e32 vcc_lo, s[0:1], v[18:19]
	s_and_b32 s1, s2, vcc_lo
	s_wait_alu 0xfffe
	s_and_saveexec_b32 s0, s1
	s_cbranch_execz .LBB50_80
; %bb.76:
	s_mov_b32 s4, exec_lo
	s_brev_b32 s1, -2
.LBB50_77:                              ; =>This Inner Loop Header: Depth=1
	s_wait_alu 0xfffe
	s_ctz_i32_b32 s5, s4
	s_wait_alu 0xfffe
	v_readlane_b32 s6, v0, s5
	s_lshl_b32 s5, 1, s5
	s_wait_alu 0xfffe
	s_and_not1_b32 s4, s4, s5
	s_min_i32 s1, s1, s6
	s_wait_alu 0xfffe
	s_cmp_lg_u32 s4, 0
	s_cbranch_scc1 .LBB50_77
; %bb.78:
	v_mbcnt_lo_u32_b32 v1, exec_lo, 0
	s_mov_b32 s4, exec_lo
	s_delay_alu instid0(VALU_DEP_1)
	v_cmpx_eq_u32_e32 0, v1
	s_wait_alu 0xfffe
	s_xor_b32 s4, exec_lo, s4
	s_cbranch_execz .LBB50_80
; %bb.79:
	v_dual_mov_b32 v1, 0 :: v_dual_mov_b32 v2, s1
	global_atomic_min_i32 v1, v2, s[18:19] scope:SCOPE_DEV
.LBB50_80:
	s_wait_alu 0xfffe
	s_or_b32 exec_lo, exec_lo, s0
	v_cmp_eq_f64_e32 vcc_lo, 0, v[5:6]
	v_cmp_eq_f64_e64 s0, 0, v[7:8]
	s_and_b32 s0, vcc_lo, s0
	s_wait_alu 0xfffe
	s_and_b32 s0, s2, s0
	s_wait_alu 0xfffe
	s_and_b32 exec_lo, exec_lo, s0
	s_cbranch_execz .LBB50_85
; %bb.81:
	s_mov_b32 s1, exec_lo
	s_brev_b32 s0, -2
.LBB50_82:                              ; =>This Inner Loop Header: Depth=1
	s_wait_alu 0xfffe
	s_ctz_i32_b32 s2, s1
	s_wait_alu 0xfffe
	v_readlane_b32 s4, v0, s2
	s_lshl_b32 s2, 1, s2
	s_wait_alu 0xfffe
	s_and_not1_b32 s1, s1, s2
	s_min_i32 s0, s0, s4
	s_wait_alu 0xfffe
	s_cmp_lg_u32 s1, 0
	s_cbranch_scc1 .LBB50_82
; %bb.83:
	v_mbcnt_lo_u32_b32 v0, exec_lo, 0
	s_mov_b32 s1, exec_lo
	s_delay_alu instid0(VALU_DEP_1)
	v_cmpx_eq_u32_e32 0, v0
	s_wait_alu 0xfffe
	s_xor_b32 s1, exec_lo, s1
	s_cbranch_execz .LBB50_85
; %bb.84:
	v_dual_mov_b32 v0, 0 :: v_dual_mov_b32 v1, s0
	global_atomic_min_i32 v0, v1, s[16:17] scope:SCOPE_DEV
.LBB50_85:
	s_wait_alu 0xfffe
	s_or_b32 exec_lo, exec_lo, s3
	v_cmp_eq_u32_e32 vcc_lo, 0, v24
	s_wait_loadcnt 0x0
	s_wait_storecnt 0x0
	global_inv scope:SCOPE_DEV
	s_and_b32 exec_lo, exec_lo, vcc_lo
	s_cbranch_execz .LBB50_87
; %bb.86:
	v_add_co_u32 v0, vcc_lo, s12, v13
	s_wait_alu 0xfffd
	v_add_co_ci_u32_e64 v1, null, s13, v14, vcc_lo
	v_mov_b32_e32 v2, 1
	s_wait_loadcnt 0x0
	global_store_b32 v[0:1], v2, off scope:SCOPE_DEV
.LBB50_87:
	s_endpgm
	.section	.rodata,"a",@progbits
	.p2align	6, 0x0
	.amdhsa_kernel _ZN9rocsparseL12csrilu0_hashILj256ELj64ELj16E21rocsparse_complex_numIdEEEviPKiS4_PT2_S4_PiS4_S7_S7_d21rocsparse_index_base_imNS_24const_host_device_scalarIfEENS9_IdEENS9_IS5_EEb
		.amdhsa_group_segment_fixed_size 32768
		.amdhsa_private_segment_fixed_size 16
		.amdhsa_kernarg_size 132
		.amdhsa_user_sgpr_count 2
		.amdhsa_user_sgpr_dispatch_ptr 0
		.amdhsa_user_sgpr_queue_ptr 0
		.amdhsa_user_sgpr_kernarg_segment_ptr 1
		.amdhsa_user_sgpr_dispatch_id 0
		.amdhsa_user_sgpr_private_segment_size 0
		.amdhsa_wavefront_size32 1
		.amdhsa_uses_dynamic_stack 0
		.amdhsa_enable_private_segment 1
		.amdhsa_system_sgpr_workgroup_id_x 1
		.amdhsa_system_sgpr_workgroup_id_y 0
		.amdhsa_system_sgpr_workgroup_id_z 0
		.amdhsa_system_sgpr_workgroup_info 0
		.amdhsa_system_vgpr_workitem_id 0
		.amdhsa_next_free_vgpr 169
		.amdhsa_next_free_sgpr 40
		.amdhsa_reserve_vcc 1
		.amdhsa_float_round_mode_32 0
		.amdhsa_float_round_mode_16_64 0
		.amdhsa_float_denorm_mode_32 3
		.amdhsa_float_denorm_mode_16_64 3
		.amdhsa_fp16_overflow 0
		.amdhsa_workgroup_processor_mode 1
		.amdhsa_memory_ordered 1
		.amdhsa_forward_progress 1
		.amdhsa_inst_pref_size 33
		.amdhsa_round_robin_scheduling 0
		.amdhsa_exception_fp_ieee_invalid_op 0
		.amdhsa_exception_fp_denorm_src 0
		.amdhsa_exception_fp_ieee_div_zero 0
		.amdhsa_exception_fp_ieee_overflow 0
		.amdhsa_exception_fp_ieee_underflow 0
		.amdhsa_exception_fp_ieee_inexact 0
		.amdhsa_exception_int_div_zero 0
	.end_amdhsa_kernel
	.section	.text._ZN9rocsparseL12csrilu0_hashILj256ELj64ELj16E21rocsparse_complex_numIdEEEviPKiS4_PT2_S4_PiS4_S7_S7_d21rocsparse_index_base_imNS_24const_host_device_scalarIfEENS9_IdEENS9_IS5_EEb,"axG",@progbits,_ZN9rocsparseL12csrilu0_hashILj256ELj64ELj16E21rocsparse_complex_numIdEEEviPKiS4_PT2_S4_PiS4_S7_S7_d21rocsparse_index_base_imNS_24const_host_device_scalarIfEENS9_IdEENS9_IS5_EEb,comdat
.Lfunc_end50:
	.size	_ZN9rocsparseL12csrilu0_hashILj256ELj64ELj16E21rocsparse_complex_numIdEEEviPKiS4_PT2_S4_PiS4_S7_S7_d21rocsparse_index_base_imNS_24const_host_device_scalarIfEENS9_IdEENS9_IS5_EEb, .Lfunc_end50-_ZN9rocsparseL12csrilu0_hashILj256ELj64ELj16E21rocsparse_complex_numIdEEEviPKiS4_PT2_S4_PiS4_S7_S7_d21rocsparse_index_base_imNS_24const_host_device_scalarIfEENS9_IdEENS9_IS5_EEb
                                        ; -- End function
	.set _ZN9rocsparseL12csrilu0_hashILj256ELj64ELj16E21rocsparse_complex_numIdEEEviPKiS4_PT2_S4_PiS4_S7_S7_d21rocsparse_index_base_imNS_24const_host_device_scalarIfEENS9_IdEENS9_IS5_EEb.num_vgpr, 39
	.set _ZN9rocsparseL12csrilu0_hashILj256ELj64ELj16E21rocsparse_complex_numIdEEEviPKiS4_PT2_S4_PiS4_S7_S7_d21rocsparse_index_base_imNS_24const_host_device_scalarIfEENS9_IdEENS9_IS5_EEb.num_agpr, 0
	.set _ZN9rocsparseL12csrilu0_hashILj256ELj64ELj16E21rocsparse_complex_numIdEEEviPKiS4_PT2_S4_PiS4_S7_S7_d21rocsparse_index_base_imNS_24const_host_device_scalarIfEENS9_IdEENS9_IS5_EEb.numbered_sgpr, 40
	.set _ZN9rocsparseL12csrilu0_hashILj256ELj64ELj16E21rocsparse_complex_numIdEEEviPKiS4_PT2_S4_PiS4_S7_S7_d21rocsparse_index_base_imNS_24const_host_device_scalarIfEENS9_IdEENS9_IS5_EEb.num_named_barrier, 0
	.set _ZN9rocsparseL12csrilu0_hashILj256ELj64ELj16E21rocsparse_complex_numIdEEEviPKiS4_PT2_S4_PiS4_S7_S7_d21rocsparse_index_base_imNS_24const_host_device_scalarIfEENS9_IdEENS9_IS5_EEb.private_seg_size, 16
	.set _ZN9rocsparseL12csrilu0_hashILj256ELj64ELj16E21rocsparse_complex_numIdEEEviPKiS4_PT2_S4_PiS4_S7_S7_d21rocsparse_index_base_imNS_24const_host_device_scalarIfEENS9_IdEENS9_IS5_EEb.uses_vcc, 1
	.set _ZN9rocsparseL12csrilu0_hashILj256ELj64ELj16E21rocsparse_complex_numIdEEEviPKiS4_PT2_S4_PiS4_S7_S7_d21rocsparse_index_base_imNS_24const_host_device_scalarIfEENS9_IdEENS9_IS5_EEb.uses_flat_scratch, 0
	.set _ZN9rocsparseL12csrilu0_hashILj256ELj64ELj16E21rocsparse_complex_numIdEEEviPKiS4_PT2_S4_PiS4_S7_S7_d21rocsparse_index_base_imNS_24const_host_device_scalarIfEENS9_IdEENS9_IS5_EEb.has_dyn_sized_stack, 0
	.set _ZN9rocsparseL12csrilu0_hashILj256ELj64ELj16E21rocsparse_complex_numIdEEEviPKiS4_PT2_S4_PiS4_S7_S7_d21rocsparse_index_base_imNS_24const_host_device_scalarIfEENS9_IdEENS9_IS5_EEb.has_recursion, 0
	.set _ZN9rocsparseL12csrilu0_hashILj256ELj64ELj16E21rocsparse_complex_numIdEEEviPKiS4_PT2_S4_PiS4_S7_S7_d21rocsparse_index_base_imNS_24const_host_device_scalarIfEENS9_IdEENS9_IS5_EEb.has_indirect_call, 0
	.section	.AMDGPU.csdata,"",@progbits
; Kernel info:
; codeLenInByte = 4140
; TotalNumSgprs: 42
; NumVgprs: 39
; ScratchSize: 16
; MemoryBound: 0
; FloatMode: 240
; IeeeMode: 1
; LDSByteSize: 32768 bytes/workgroup (compile time only)
; SGPRBlocks: 0
; VGPRBlocks: 21
; NumSGPRsForWavesPerEU: 42
; NumVGPRsForWavesPerEU: 169
; Occupancy: 8
; WaveLimiterHint : 1
; COMPUTE_PGM_RSRC2:SCRATCH_EN: 1
; COMPUTE_PGM_RSRC2:USER_SGPR: 2
; COMPUTE_PGM_RSRC2:TRAP_HANDLER: 0
; COMPUTE_PGM_RSRC2:TGID_X_EN: 1
; COMPUTE_PGM_RSRC2:TGID_Y_EN: 0
; COMPUTE_PGM_RSRC2:TGID_Z_EN: 0
; COMPUTE_PGM_RSRC2:TIDIG_COMP_CNT: 0
	.section	.text._ZN9rocsparseL17csrilu0_binsearchILj256ELj64ELb0E21rocsparse_complex_numIdEEEviPKiS4_PT2_S4_PiS4_S7_S7_d21rocsparse_index_base_imNS_24const_host_device_scalarIfEENS9_IdEENS9_IS5_EEb,"axG",@progbits,_ZN9rocsparseL17csrilu0_binsearchILj256ELj64ELb0E21rocsparse_complex_numIdEEEviPKiS4_PT2_S4_PiS4_S7_S7_d21rocsparse_index_base_imNS_24const_host_device_scalarIfEENS9_IdEENS9_IS5_EEb,comdat
	.globl	_ZN9rocsparseL17csrilu0_binsearchILj256ELj64ELb0E21rocsparse_complex_numIdEEEviPKiS4_PT2_S4_PiS4_S7_S7_d21rocsparse_index_base_imNS_24const_host_device_scalarIfEENS9_IdEENS9_IS5_EEb ; -- Begin function _ZN9rocsparseL17csrilu0_binsearchILj256ELj64ELb0E21rocsparse_complex_numIdEEEviPKiS4_PT2_S4_PiS4_S7_S7_d21rocsparse_index_base_imNS_24const_host_device_scalarIfEENS9_IdEENS9_IS5_EEb
	.p2align	8
	.type	_ZN9rocsparseL17csrilu0_binsearchILj256ELj64ELb0E21rocsparse_complex_numIdEEEviPKiS4_PT2_S4_PiS4_S7_S7_d21rocsparse_index_base_imNS_24const_host_device_scalarIfEENS9_IdEENS9_IS5_EEb,@function
_ZN9rocsparseL17csrilu0_binsearchILj256ELj64ELb0E21rocsparse_complex_numIdEEEviPKiS4_PT2_S4_PiS4_S7_S7_d21rocsparse_index_base_imNS_24const_host_device_scalarIfEENS9_IdEENS9_IS5_EEb: ; @_ZN9rocsparseL17csrilu0_binsearchILj256ELj64ELb0E21rocsparse_complex_numIdEEEviPKiS4_PT2_S4_PiS4_S7_S7_d21rocsparse_index_base_imNS_24const_host_device_scalarIfEENS9_IdEENS9_IS5_EEb
; %bb.0:
	s_clause 0x2
	s_load_b96 s[4:6], s[0:1], 0x78
	s_load_b64 s[28:29], s[0:1], 0x50
	s_load_b256 s[20:27], s[0:1], 0x58
	s_wait_kmcnt 0x0
	s_bitcmp1_b32 s6, 0
	s_cselect_b32 s6, -1, 0
	s_cmp_eq_u32 s29, 0
	v_dual_mov_b32 v1, s26 :: v_dual_mov_b32 v2, s27
	s_cselect_b32 s2, -1, 0
	s_cmp_lg_u32 s29, 0
	s_cselect_b32 s7, -1, 0
	s_or_b32 s9, s2, s6
	scratch_store_b64 off, v[1:2], off
	s_xor_b32 s8, s9, -1
	s_and_b32 s2, s2, exec_lo
	s_cselect_b32 s3, 0, s25
	s_cselect_b32 s2, 0, s24
	;; [unrolled: 1-line block ×3, first 2 shown]
	s_and_b32 vcc_lo, exec_lo, s9
	s_cbranch_vccnz .LBB51_2
; %bb.1:
	s_load_b32 s29, s[22:23], 0x0
	s_mov_b64 s[2:3], s[24:25]
.LBB51_2:
	s_delay_alu instid0(SALU_CYCLE_1)
	v_dual_mov_b32 v16, s3 :: v_dual_mov_b32 v15, s2
	s_and_not1_b32 vcc_lo, exec_lo, s8
	s_cbranch_vccnz .LBB51_4
; %bb.3:
	v_dual_mov_b32 v1, s24 :: v_dual_mov_b32 v2, s25
	flat_load_b64 v[15:16], v[1:2]
.LBB51_4:
	v_mov_b32_e32 v1, 0
	v_dual_mov_b32 v2, 0 :: v_dual_mov_b32 v3, 0
	v_cndmask_b32_e64 v24, 0, 1, s7
	v_mov_b32_e32 v4, 0
	s_and_not1_b32 vcc_lo, exec_lo, s7
	s_cbranch_vccnz .LBB51_7
; %bb.5:
	s_mov_b64 s[2:3], src_private_base
	s_xor_b32 s2, s6, -1
	s_and_b32 s6, s6, exec_lo
	s_cselect_b32 s6, 0, s26
	s_wait_alu 0xfffe
	s_cselect_b32 s3, s3, s27
	s_wait_alu 0xfffe
	v_dual_mov_b32 v1, s6 :: v_dual_mov_b32 v2, s3
	v_dual_mov_b32 v3, s4 :: v_dual_mov_b32 v4, s5
	s_and_not1_b32 vcc_lo, exec_lo, s2
	flat_load_b64 v[1:2], v[1:2]
	s_cbranch_vccnz .LBB51_7
; %bb.6:
	v_dual_mov_b32 v3, s26 :: v_dual_mov_b32 v4, s27
	flat_load_b64 v[3:4], v[3:4] offset:8
.LBB51_7:
	s_load_b32 s2, s[0:1], 0x0
	v_lshrrev_b32_e32 v5, 6, v0
	s_lshl_b32 s3, ttmp9, 2
	s_wait_alu 0xfffe
	s_delay_alu instid0(VALU_DEP_1) | instskip(SKIP_1) | instid1(VALU_DEP_1)
	v_and_or_b32 v5, 0x3fffffc, s3, v5
	s_wait_kmcnt 0x0
	v_cmp_gt_i32_e32 vcc_lo, s2, v5
	s_and_saveexec_b32 s2, vcc_lo
	s_cbranch_execz .LBB51_49
; %bb.8:
	s_load_b512 s[4:19], s[0:1], 0x8
	v_lshlrev_b32_e32 v5, 2, v5
	v_and_b32_e32 v0, 63, v0
	s_mov_b32 s3, exec_lo
	s_wait_kmcnt 0x0
	global_load_b32 v17, v5, s[14:15]
	s_wait_loadcnt 0x0
	v_ashrrev_i32_e32 v18, 31, v17
	s_delay_alu instid0(VALU_DEP_1) | instskip(NEXT) | instid1(VALU_DEP_1)
	v_lshlrev_b64_e32 v[13:14], 2, v[17:18]
	v_add_co_u32 v5, vcc_lo, s4, v13
	s_delay_alu instid0(VALU_DEP_1)
	v_add_co_ci_u32_e64 v6, null, s5, v14, vcc_lo
	v_add_co_u32 v7, vcc_lo, s10, v13
	s_wait_alu 0xfffd
	v_add_co_ci_u32_e64 v8, null, s11, v14, vcc_lo
	global_load_b32 v9, v[5:6], off
	global_load_b32 v18, v[7:8], off
	s_wait_loadcnt 0x1
	v_subrev_nc_u32_e32 v19, s28, v9
	s_wait_loadcnt 0x0
	s_delay_alu instid0(VALU_DEP_1)
	v_cmpx_lt_i32_e64 v19, v18
	s_cbranch_execz .LBB51_25
; %bb.9:
	global_load_b32 v5, v[5:6], off offset:4
	v_add_nc_u32_e32 v25, 1, v0
	s_mov_b32 s14, 0
	s_wait_loadcnt 0x0
	v_xad_u32 v26, s28, -1, v5
	s_branch .LBB51_12
.LBB51_10:                              ;   in Loop: Header=BB51_12 Depth=1
	s_or_b32 exec_lo, exec_lo, s15
	v_cmp_ge_i32_e32 vcc_lo, v19, v18
	s_or_not1_b32 s15, vcc_lo, exec_lo
.LBB51_11:                              ;   in Loop: Header=BB51_12 Depth=1
	s_wait_alu 0xfffe
	s_or_b32 exec_lo, exec_lo, s2
	s_delay_alu instid0(SALU_CYCLE_1) | instskip(SKIP_2) | instid1(SALU_CYCLE_1)
	s_and_b32 s2, exec_lo, s15
	s_wait_alu 0xfffe
	s_or_b32 s14, s2, s14
	s_and_not1_b32 exec_lo, exec_lo, s14
	s_cbranch_execz .LBB51_25
.LBB51_12:                              ; =>This Loop Header: Depth=1
                                        ;     Child Loop BB51_14 Depth 2
                                        ;     Child Loop BB51_19 Depth 2
                                        ;       Child Loop BB51_21 Depth 3
	v_ashrrev_i32_e32 v20, 31, v19
	s_mov_b32 s2, exec_lo
	s_delay_alu instid0(VALU_DEP_1) | instskip(SKIP_1) | instid1(VALU_DEP_2)
	v_lshlrev_b64_e32 v[5:6], 2, v[19:20]
	v_lshlrev_b64_e32 v[7:8], 4, v[19:20]
	v_add_co_u32 v5, vcc_lo, s6, v5
	s_wait_alu 0xfffd
	s_delay_alu instid0(VALU_DEP_3) | instskip(NEXT) | instid1(VALU_DEP_3)
	v_add_co_ci_u32_e64 v6, null, s7, v6, vcc_lo
	v_add_co_u32 v20, vcc_lo, s8, v7
	s_wait_alu 0xfffd
	v_add_co_ci_u32_e64 v21, null, s9, v8, vcc_lo
	global_load_b32 v5, v[5:6], off
	s_wait_loadcnt 0x0
	v_subrev_nc_u32_e32 v5, s28, v5
	s_delay_alu instid0(VALU_DEP_1) | instskip(NEXT) | instid1(VALU_DEP_1)
	v_ashrrev_i32_e32 v6, 31, v5
	v_lshlrev_b64_e32 v[5:6], 2, v[5:6]
	s_delay_alu instid0(VALU_DEP_1) | instskip(SKIP_1) | instid1(VALU_DEP_2)
	v_add_co_u32 v11, vcc_lo, s4, v5
	s_wait_alu 0xfffd
	v_add_co_ci_u32_e64 v12, null, s5, v6, vcc_lo
	v_add_co_u32 v22, vcc_lo, s10, v5
	s_wait_alu 0xfffd
	v_add_co_ci_u32_e64 v23, null, s11, v6, vcc_lo
	;; [unrolled: 3-line block ×3, first 2 shown]
	global_load_b128 v[5:8], v[20:21], off
	global_load_b32 v12, v[11:12], off offset:4
	global_load_b32 v11, v[22:23], off
	global_load_b32 v22, v[9:10], off scope:SCOPE_DEV
	s_wait_loadcnt 0x0
	v_cmpx_eq_u32_e32 0, v22
	s_cbranch_execz .LBB51_15
; %bb.13:                               ;   in Loop: Header=BB51_12 Depth=1
	s_mov_b32 s15, 0
.LBB51_14:                              ;   Parent Loop BB51_12 Depth=1
                                        ; =>  This Inner Loop Header: Depth=2
	global_load_b32 v22, v[9:10], off scope:SCOPE_DEV
	s_wait_loadcnt 0x0
	v_cmp_ne_u32_e32 vcc_lo, 0, v22
	s_or_b32 s15, vcc_lo, s15
	s_delay_alu instid0(SALU_CYCLE_1)
	s_and_not1_b32 exec_lo, exec_lo, s15
	s_cbranch_execnz .LBB51_14
.LBB51_15:                              ;   in Loop: Header=BB51_12 Depth=1
	s_wait_alu 0xfffe
	s_or_b32 exec_lo, exec_lo, s2
	v_subrev_nc_u32_e32 v27, s28, v12
	v_cmp_eq_u32_e32 vcc_lo, -1, v11
	s_wait_storecnt_dscnt 0x0
	global_inv scope:SCOPE_DEV
	s_mov_b32 s15, -1
	v_add_nc_u32_e32 v9, -1, v27
	s_wait_alu 0xfffd
	s_delay_alu instid0(VALU_DEP_1) | instskip(NEXT) | instid1(VALU_DEP_1)
	v_cndmask_b32_e32 v22, v11, v9, vcc_lo
	v_ashrrev_i32_e32 v23, 31, v22
	s_delay_alu instid0(VALU_DEP_1) | instskip(NEXT) | instid1(VALU_DEP_1)
	v_lshlrev_b64_e32 v[9:10], 4, v[22:23]
	v_add_co_u32 v9, vcc_lo, s8, v9
	s_wait_alu 0xfffd
	s_delay_alu instid0(VALU_DEP_2)
	v_add_co_ci_u32_e64 v10, null, s9, v10, vcc_lo
	global_load_b128 v[9:12], v[9:10], off
	s_wait_loadcnt 0x0
	v_cmp_neq_f64_e32 vcc_lo, 0, v[9:10]
	v_cmp_neq_f64_e64 s2, 0, v[11:12]
	s_or_b32 s2, vcc_lo, s2
	s_wait_alu 0xfffe
	s_and_saveexec_b32 s22, s2
	s_delay_alu instid0(SALU_CYCLE_1)
	s_xor_b32 s2, exec_lo, s22
	s_cbranch_execz .LBB51_11
; %bb.16:                               ;   in Loop: Header=BB51_12 Depth=1
	v_mul_f64_e32 v[28:29], v[11:12], v[11:12]
	v_add_nc_u32_e32 v19, 1, v19
	s_mov_b32 s15, exec_lo
	s_delay_alu instid0(VALU_DEP_2) | instskip(NEXT) | instid1(VALU_DEP_1)
	v_fma_f64 v[28:29], v[9:10], v[9:10], v[28:29]
	v_div_scale_f64 v[30:31], null, v[28:29], v[28:29], 1.0
	v_div_scale_f64 v[36:37], vcc_lo, 1.0, v[28:29], 1.0
	s_delay_alu instid0(VALU_DEP_2) | instskip(NEXT) | instid1(TRANS32_DEP_1)
	v_rcp_f64_e32 v[32:33], v[30:31]
	v_fma_f64 v[34:35], -v[30:31], v[32:33], 1.0
	s_delay_alu instid0(VALU_DEP_1) | instskip(NEXT) | instid1(VALU_DEP_1)
	v_fma_f64 v[32:33], v[32:33], v[34:35], v[32:33]
	v_fma_f64 v[34:35], -v[30:31], v[32:33], 1.0
	s_delay_alu instid0(VALU_DEP_1) | instskip(NEXT) | instid1(VALU_DEP_1)
	v_fma_f64 v[32:33], v[32:33], v[34:35], v[32:33]
	v_mul_f64_e32 v[34:35], v[36:37], v[32:33]
	s_delay_alu instid0(VALU_DEP_1) | instskip(SKIP_3) | instid1(VALU_DEP_3)
	v_fma_f64 v[30:31], -v[30:31], v[34:35], v[36:37]
	v_mul_f64_e32 v[36:37], v[7:8], v[11:12]
	v_mul_f64_e64 v[11:12], v[11:12], -v[5:6]
	s_wait_alu 0xfffd
	v_div_fmas_f64 v[30:31], v[30:31], v[32:33], v[34:35]
	s_delay_alu instid0(VALU_DEP_3) | instskip(NEXT) | instid1(VALU_DEP_3)
	v_fma_f64 v[5:6], v[5:6], v[9:10], v[36:37]
	v_fma_f64 v[7:8], v[7:8], v[9:10], v[11:12]
	v_add_nc_u32_e32 v9, v25, v22
	s_delay_alu instid0(VALU_DEP_4) | instskip(NEXT) | instid1(VALU_DEP_1)
	v_div_fixup_f64 v[28:29], v[30:31], v[28:29], 1.0
	v_mul_f64_e32 v[5:6], v[5:6], v[28:29]
	s_delay_alu instid0(VALU_DEP_4)
	v_mul_f64_e32 v[7:8], v[7:8], v[28:29]
	global_store_b128 v[20:21], v[5:8], off
	v_cmpx_lt_i32_e64 v9, v27
	s_cbranch_execz .LBB51_10
; %bb.17:                               ;   in Loop: Header=BB51_12 Depth=1
	v_mov_b32_e32 v11, v19
	s_mov_b32 s22, 0
	s_branch .LBB51_19
.LBB51_18:                              ;   in Loop: Header=BB51_19 Depth=2
	s_or_b32 exec_lo, exec_lo, s23
	v_add_nc_u32_e32 v9, 64, v9
	s_delay_alu instid0(VALU_DEP_1) | instskip(SKIP_1) | instid1(SALU_CYCLE_1)
	v_cmp_ge_i32_e32 vcc_lo, v9, v27
	s_or_b32 s22, vcc_lo, s22
	s_and_not1_b32 exec_lo, exec_lo, s22
	s_cbranch_execz .LBB51_10
.LBB51_19:                              ;   Parent Loop BB51_12 Depth=1
                                        ; =>  This Loop Header: Depth=2
                                        ;       Child Loop BB51_21 Depth 3
	s_delay_alu instid0(VALU_DEP_1) | instskip(SKIP_1) | instid1(VALU_DEP_1)
	v_add_nc_u32_e32 v10, v11, v26
	s_mov_b32 s23, exec_lo
	v_ashrrev_i32_e32 v20, 1, v10
	v_ashrrev_i32_e32 v10, 31, v9
	s_delay_alu instid0(VALU_DEP_2) | instskip(NEXT) | instid1(VALU_DEP_2)
	v_ashrrev_i32_e32 v21, 31, v20
	v_lshlrev_b64_e32 v[22:23], 2, v[9:10]
	s_delay_alu instid0(VALU_DEP_2) | instskip(NEXT) | instid1(VALU_DEP_2)
	v_lshlrev_b64_e32 v[28:29], 2, v[20:21]
	v_add_co_u32 v21, vcc_lo, s6, v22
	s_wait_alu 0xfffd
	s_delay_alu instid0(VALU_DEP_3) | instskip(NEXT) | instid1(VALU_DEP_3)
	v_add_co_ci_u32_e64 v22, null, s7, v23, vcc_lo
	v_add_co_u32 v28, vcc_lo, s6, v28
	s_wait_alu 0xfffd
	v_add_co_ci_u32_e64 v29, null, s7, v29, vcc_lo
	s_clause 0x1
	global_load_b32 v12, v[21:22], off
	global_load_b32 v21, v[28:29], off
	v_cmpx_lt_i32_e64 v11, v26
	s_cbranch_execz .LBB51_23
; %bb.20:                               ;   in Loop: Header=BB51_19 Depth=2
	v_mov_b32_e32 v22, v26
	s_mov_b32 s24, 0
.LBB51_21:                              ;   Parent Loop BB51_12 Depth=1
                                        ;     Parent Loop BB51_19 Depth=2
                                        ; =>    This Inner Loop Header: Depth=3
	s_wait_loadcnt 0x0
	v_cmp_lt_i32_e32 vcc_lo, v21, v12
	s_wait_alu 0xfffd
	v_dual_cndmask_b32 v22, v20, v22 :: v_dual_add_nc_u32 v23, 1, v20
	s_delay_alu instid0(VALU_DEP_1) | instskip(NEXT) | instid1(VALU_DEP_1)
	v_cndmask_b32_e32 v11, v11, v23, vcc_lo
	v_add_nc_u32_e32 v20, v22, v11
	s_delay_alu instid0(VALU_DEP_1) | instskip(NEXT) | instid1(VALU_DEP_1)
	v_ashrrev_i32_e32 v20, 1, v20
	v_ashrrev_i32_e32 v21, 31, v20
	s_delay_alu instid0(VALU_DEP_1) | instskip(NEXT) | instid1(VALU_DEP_1)
	v_lshlrev_b64_e32 v[28:29], 2, v[20:21]
	v_add_co_u32 v28, vcc_lo, s6, v28
	s_wait_alu 0xfffd
	s_delay_alu instid0(VALU_DEP_2)
	v_add_co_ci_u32_e64 v29, null, s7, v29, vcc_lo
	v_cmp_ge_i32_e32 vcc_lo, v11, v22
	global_load_b32 v21, v[28:29], off
	s_wait_alu 0xfffe
	s_or_b32 s24, vcc_lo, s24
	s_wait_alu 0xfffe
	s_and_not1_b32 exec_lo, exec_lo, s24
	s_cbranch_execnz .LBB51_21
; %bb.22:                               ;   in Loop: Header=BB51_19 Depth=2
	s_or_b32 exec_lo, exec_lo, s24
.LBB51_23:                              ;   in Loop: Header=BB51_19 Depth=2
	s_delay_alu instid0(SALU_CYCLE_1) | instskip(NEXT) | instid1(SALU_CYCLE_1)
	s_or_b32 exec_lo, exec_lo, s23
	s_mov_b32 s23, exec_lo
	s_wait_loadcnt 0x0
	v_cmpx_eq_u32_e64 v21, v12
	s_cbranch_execz .LBB51_18
; %bb.24:                               ;   in Loop: Header=BB51_19 Depth=2
	v_ashrrev_i32_e32 v12, 31, v11
	v_lshlrev_b64_e32 v[20:21], 4, v[9:10]
	s_delay_alu instid0(VALU_DEP_2) | instskip(NEXT) | instid1(VALU_DEP_2)
	v_lshlrev_b64_e32 v[22:23], 4, v[11:12]
	v_add_co_u32 v20, vcc_lo, s8, v20
	s_wait_alu 0xfffd
	s_delay_alu instid0(VALU_DEP_3) | instskip(NEXT) | instid1(VALU_DEP_3)
	v_add_co_ci_u32_e64 v21, null, s9, v21, vcc_lo
	v_add_co_u32 v32, vcc_lo, s8, v22
	s_wait_alu 0xfffd
	v_add_co_ci_u32_e64 v33, null, s9, v23, vcc_lo
	s_clause 0x1
	global_load_b128 v[20:23], v[20:21], off
	global_load_b128 v[28:31], v[32:33], off
	s_wait_loadcnt 0x0
	v_fma_f64 v[28:29], -v[5:6], v[20:21], v[28:29]
	v_fma_f64 v[30:31], -v[7:8], v[20:21], v[30:31]
	s_delay_alu instid0(VALU_DEP_2) | instskip(NEXT) | instid1(VALU_DEP_2)
	v_fma_f64 v[20:21], v[7:8], v[22:23], v[28:29]
	v_fma_f64 v[22:23], -v[5:6], v[22:23], v[30:31]
	global_store_b128 v[32:33], v[20:23], off
	s_branch .LBB51_18
.LBB51_25:
	s_wait_alu 0xfffe
	s_or_b32 exec_lo, exec_lo, s3
	s_delay_alu instid0(SALU_CYCLE_1)
	s_mov_b32 s3, exec_lo
	s_wait_storecnt_dscnt 0x0
	global_inv scope:SCOPE_SE
	v_cmpx_lt_i32_e32 -1, v18
	s_cbranch_execz .LBB51_47
; %bb.26:
	v_mov_b32_e32 v19, 0
	s_mov_b32 s2, exec_lo
	s_delay_alu instid0(VALU_DEP_1) | instskip(NEXT) | instid1(VALU_DEP_1)
	v_lshlrev_b64_e32 v[5:6], 4, v[18:19]
	v_add_co_u32 v9, vcc_lo, s8, v5
	s_wait_alu 0xfffd
	s_delay_alu instid0(VALU_DEP_2)
	v_add_co_ci_u32_e64 v10, null, s9, v6, vcc_lo
	global_load_b128 v[5:8], v[9:10], off
	s_wait_loadcnt 0x0
	v_cmp_gt_f64_e32 vcc_lo, 0, v[5:6]
	v_xor_b32_e32 v12, 0x80000000, v6
	v_xor_b32_e32 v18, 0x80000000, v8
	v_dual_mov_b32 v11, v5 :: v_dual_mov_b32 v20, v7
	s_wait_alu 0xfffd
	s_delay_alu instid0(VALU_DEP_3) | instskip(SKIP_3) | instid1(VALU_DEP_1)
	v_cndmask_b32_e32 v12, v6, v12, vcc_lo
	v_cmp_gt_f64_e32 vcc_lo, 0, v[7:8]
	s_wait_alu 0xfffd
	v_cndmask_b32_e32 v21, v8, v18, vcc_lo
                                        ; implicit-def: $vgpr18_vgpr19
	v_cmpx_ngt_f64_e32 v[11:12], v[20:21]
	s_wait_alu 0xfffe
	s_xor_b32 s2, exec_lo, s2
	s_cbranch_execz .LBB51_30
; %bb.27:
	v_mov_b32_e32 v18, 0
	v_mov_b32_e32 v19, 0
	s_mov_b32 s4, exec_lo
	v_cmpx_neq_f64_e32 0, v[7:8]
	s_cbranch_execz .LBB51_29
; %bb.28:
	v_div_scale_f64 v[18:19], null, v[20:21], v[20:21], v[11:12]
	v_div_scale_f64 v[27:28], vcc_lo, v[11:12], v[20:21], v[11:12]
	s_delay_alu instid0(VALU_DEP_2) | instskip(NEXT) | instid1(TRANS32_DEP_1)
	v_rcp_f64_e32 v[22:23], v[18:19]
	v_fma_f64 v[25:26], -v[18:19], v[22:23], 1.0
	s_delay_alu instid0(VALU_DEP_1) | instskip(NEXT) | instid1(VALU_DEP_1)
	v_fma_f64 v[22:23], v[22:23], v[25:26], v[22:23]
	v_fma_f64 v[25:26], -v[18:19], v[22:23], 1.0
	s_delay_alu instid0(VALU_DEP_1) | instskip(NEXT) | instid1(VALU_DEP_1)
	v_fma_f64 v[22:23], v[22:23], v[25:26], v[22:23]
	v_mul_f64_e32 v[25:26], v[27:28], v[22:23]
	s_delay_alu instid0(VALU_DEP_1) | instskip(SKIP_1) | instid1(VALU_DEP_1)
	v_fma_f64 v[18:19], -v[18:19], v[25:26], v[27:28]
	s_wait_alu 0xfffd
	v_div_fmas_f64 v[18:19], v[18:19], v[22:23], v[25:26]
	s_delay_alu instid0(VALU_DEP_1) | instskip(NEXT) | instid1(VALU_DEP_1)
	v_div_fixup_f64 v[11:12], v[18:19], v[20:21], v[11:12]
	v_fma_f64 v[11:12], v[11:12], v[11:12], 1.0
	s_delay_alu instid0(VALU_DEP_1) | instskip(SKIP_2) | instid1(VALU_DEP_1)
	v_cmp_gt_f64_e32 vcc_lo, 0x10000000, v[11:12]
	s_wait_alu 0xfffd
	v_cndmask_b32_e64 v18, 0, 0x100, vcc_lo
	v_ldexp_f64 v[11:12], v[11:12], v18
	s_delay_alu instid0(VALU_DEP_1) | instskip(NEXT) | instid1(TRANS32_DEP_1)
	v_rsq_f64_e32 v[18:19], v[11:12]
	v_mul_f64_e32 v[22:23], v[11:12], v[18:19]
	v_mul_f64_e32 v[18:19], 0.5, v[18:19]
	s_delay_alu instid0(VALU_DEP_1) | instskip(NEXT) | instid1(VALU_DEP_1)
	v_fma_f64 v[25:26], -v[18:19], v[22:23], 0.5
	v_fma_f64 v[22:23], v[22:23], v[25:26], v[22:23]
	v_fma_f64 v[18:19], v[18:19], v[25:26], v[18:19]
	s_delay_alu instid0(VALU_DEP_2) | instskip(NEXT) | instid1(VALU_DEP_1)
	v_fma_f64 v[25:26], -v[22:23], v[22:23], v[11:12]
	v_fma_f64 v[22:23], v[25:26], v[18:19], v[22:23]
	s_delay_alu instid0(VALU_DEP_1) | instskip(NEXT) | instid1(VALU_DEP_1)
	v_fma_f64 v[25:26], -v[22:23], v[22:23], v[11:12]
	v_fma_f64 v[18:19], v[25:26], v[18:19], v[22:23]
	v_cndmask_b32_e64 v22, 0, 0xffffff80, vcc_lo
	v_cmp_class_f64_e64 vcc_lo, v[11:12], 0x260
	s_delay_alu instid0(VALU_DEP_2) | instskip(SKIP_1) | instid1(VALU_DEP_1)
	v_ldexp_f64 v[18:19], v[18:19], v22
	s_wait_alu 0xfffd
	v_dual_cndmask_b32 v12, v19, v12 :: v_dual_cndmask_b32 v11, v18, v11
	s_delay_alu instid0(VALU_DEP_1)
	v_mul_f64_e32 v[18:19], v[20:21], v[11:12]
.LBB51_29:
	s_wait_alu 0xfffe
	s_or_b32 exec_lo, exec_lo, s4
                                        ; implicit-def: $vgpr11_vgpr12
                                        ; implicit-def: $vgpr20_vgpr21
.LBB51_30:
	s_wait_alu 0xfffe
	s_and_not1_saveexec_b32 s2, s2
	s_cbranch_execz .LBB51_32
; %bb.31:
	v_div_scale_f64 v[18:19], null, v[11:12], v[11:12], v[20:21]
	v_div_scale_f64 v[27:28], vcc_lo, v[20:21], v[11:12], v[20:21]
	s_delay_alu instid0(VALU_DEP_2) | instskip(NEXT) | instid1(TRANS32_DEP_1)
	v_rcp_f64_e32 v[22:23], v[18:19]
	v_fma_f64 v[25:26], -v[18:19], v[22:23], 1.0
	s_delay_alu instid0(VALU_DEP_1) | instskip(NEXT) | instid1(VALU_DEP_1)
	v_fma_f64 v[22:23], v[22:23], v[25:26], v[22:23]
	v_fma_f64 v[25:26], -v[18:19], v[22:23], 1.0
	s_delay_alu instid0(VALU_DEP_1) | instskip(NEXT) | instid1(VALU_DEP_1)
	v_fma_f64 v[22:23], v[22:23], v[25:26], v[22:23]
	v_mul_f64_e32 v[25:26], v[27:28], v[22:23]
	s_delay_alu instid0(VALU_DEP_1) | instskip(SKIP_1) | instid1(VALU_DEP_1)
	v_fma_f64 v[18:19], -v[18:19], v[25:26], v[27:28]
	s_wait_alu 0xfffd
	v_div_fmas_f64 v[18:19], v[18:19], v[22:23], v[25:26]
	s_delay_alu instid0(VALU_DEP_1) | instskip(NEXT) | instid1(VALU_DEP_1)
	v_div_fixup_f64 v[18:19], v[18:19], v[11:12], v[20:21]
	v_fma_f64 v[18:19], v[18:19], v[18:19], 1.0
	s_delay_alu instid0(VALU_DEP_1) | instskip(SKIP_2) | instid1(VALU_DEP_1)
	v_cmp_gt_f64_e32 vcc_lo, 0x10000000, v[18:19]
	s_wait_alu 0xfffd
	v_cndmask_b32_e64 v20, 0, 0x100, vcc_lo
	v_ldexp_f64 v[18:19], v[18:19], v20
	s_delay_alu instid0(VALU_DEP_1) | instskip(NEXT) | instid1(TRANS32_DEP_1)
	v_rsq_f64_e32 v[20:21], v[18:19]
	v_mul_f64_e32 v[22:23], v[18:19], v[20:21]
	v_mul_f64_e32 v[20:21], 0.5, v[20:21]
	s_delay_alu instid0(VALU_DEP_1) | instskip(NEXT) | instid1(VALU_DEP_1)
	v_fma_f64 v[25:26], -v[20:21], v[22:23], 0.5
	v_fma_f64 v[22:23], v[22:23], v[25:26], v[22:23]
	v_fma_f64 v[20:21], v[20:21], v[25:26], v[20:21]
	s_delay_alu instid0(VALU_DEP_2) | instskip(NEXT) | instid1(VALU_DEP_1)
	v_fma_f64 v[25:26], -v[22:23], v[22:23], v[18:19]
	v_fma_f64 v[22:23], v[25:26], v[20:21], v[22:23]
	s_delay_alu instid0(VALU_DEP_1) | instskip(NEXT) | instid1(VALU_DEP_1)
	v_fma_f64 v[25:26], -v[22:23], v[22:23], v[18:19]
	v_fma_f64 v[20:21], v[25:26], v[20:21], v[22:23]
	v_cndmask_b32_e64 v22, 0, 0xffffff80, vcc_lo
	v_cmp_class_f64_e64 vcc_lo, v[18:19], 0x260
	s_delay_alu instid0(VALU_DEP_2) | instskip(SKIP_1) | instid1(VALU_DEP_1)
	v_ldexp_f64 v[20:21], v[20:21], v22
	s_wait_alu 0xfffd
	v_dual_cndmask_b32 v19, v21, v19 :: v_dual_cndmask_b32 v18, v20, v18
	s_delay_alu instid0(VALU_DEP_1)
	v_mul_f64_e32 v[18:19], v[11:12], v[18:19]
.LBB51_32:
	s_wait_alu 0xfffe
	s_or_b32 exec_lo, exec_lo, s2
	v_cmp_ne_u32_e32 vcc_lo, 1, v24
	v_cmp_eq_u32_e64 s2, 0, v0
	s_mov_b32 s4, -1
	s_cbranch_vccnz .LBB51_36
; %bb.33:
	v_cvt_f64_f32_e32 v[11:12], s29
	s_cmp_eq_u64 s[20:21], 8
	s_cselect_b32 vcc_lo, -1, 0
	s_wait_alu 0xfffe
	s_delay_alu instid0(VALU_DEP_1) | instskip(NEXT) | instid1(VALU_DEP_1)
	v_dual_cndmask_b32 v12, v12, v16 :: v_dual_cndmask_b32 v11, v11, v15
	v_cmp_le_f64_e32 vcc_lo, v[18:19], v[11:12]
	s_and_b32 s5, s2, vcc_lo
	s_wait_alu 0xfffe
	s_and_saveexec_b32 s4, s5
	s_cbranch_execz .LBB51_35
; %bb.34:
	global_store_b128 v[9:10], v[1:4], off
.LBB51_35:
	s_wait_alu 0xfffe
	s_or_b32 exec_lo, exec_lo, s4
	s_mov_b32 s4, 0
.LBB51_36:
	s_wait_alu 0xfffe
	s_and_not1_b32 vcc_lo, exec_lo, s4
	s_wait_alu 0xfffe
	s_cbranch_vccnz .LBB51_47
; %bb.37:
	s_load_b64 s[0:1], s[0:1], 0x48
	v_add_nc_u32_e32 v1, s28, v17
	s_wait_kmcnt 0x0
	v_cmp_ge_f64_e32 vcc_lo, s[0:1], v[18:19]
	s_and_b32 s1, s2, vcc_lo
	s_wait_alu 0xfffe
	s_and_saveexec_b32 s0, s1
	s_cbranch_execz .LBB51_42
; %bb.38:
	s_mov_b32 s4, exec_lo
	s_brev_b32 s1, -2
.LBB51_39:                              ; =>This Inner Loop Header: Depth=1
	s_wait_alu 0xfffe
	s_ctz_i32_b32 s5, s4
	s_wait_alu 0xfffe
	v_readlane_b32 s6, v1, s5
	s_lshl_b32 s5, 1, s5
	s_wait_alu 0xfffe
	s_and_not1_b32 s4, s4, s5
	s_min_i32 s1, s1, s6
	s_wait_alu 0xfffe
	s_cmp_lg_u32 s4, 0
	s_cbranch_scc1 .LBB51_39
; %bb.40:
	v_mbcnt_lo_u32_b32 v2, exec_lo, 0
	s_mov_b32 s4, exec_lo
	s_delay_alu instid0(VALU_DEP_1)
	v_cmpx_eq_u32_e32 0, v2
	s_wait_alu 0xfffe
	s_xor_b32 s4, exec_lo, s4
	s_cbranch_execz .LBB51_42
; %bb.41:
	v_dual_mov_b32 v2, 0 :: v_dual_mov_b32 v3, s1
	global_atomic_min_i32 v2, v3, s[18:19] scope:SCOPE_DEV
.LBB51_42:
	s_wait_alu 0xfffe
	s_or_b32 exec_lo, exec_lo, s0
	v_cmp_eq_f64_e32 vcc_lo, 0, v[5:6]
	v_cmp_eq_f64_e64 s0, 0, v[7:8]
	s_and_b32 s0, vcc_lo, s0
	s_wait_alu 0xfffe
	s_and_b32 s0, s2, s0
	s_wait_alu 0xfffe
	s_and_b32 exec_lo, exec_lo, s0
	s_cbranch_execz .LBB51_47
; %bb.43:
	s_mov_b32 s1, exec_lo
	s_brev_b32 s0, -2
.LBB51_44:                              ; =>This Inner Loop Header: Depth=1
	s_wait_alu 0xfffe
	s_ctz_i32_b32 s2, s1
	s_wait_alu 0xfffe
	v_readlane_b32 s4, v1, s2
	s_lshl_b32 s2, 1, s2
	s_wait_alu 0xfffe
	s_and_not1_b32 s1, s1, s2
	s_min_i32 s0, s0, s4
	s_wait_alu 0xfffe
	s_cmp_lg_u32 s1, 0
	s_cbranch_scc1 .LBB51_44
; %bb.45:
	v_mbcnt_lo_u32_b32 v1, exec_lo, 0
	s_mov_b32 s1, exec_lo
	s_delay_alu instid0(VALU_DEP_1)
	v_cmpx_eq_u32_e32 0, v1
	s_wait_alu 0xfffe
	s_xor_b32 s1, exec_lo, s1
	s_cbranch_execz .LBB51_47
; %bb.46:
	v_dual_mov_b32 v1, 0 :: v_dual_mov_b32 v2, s0
	global_atomic_min_i32 v1, v2, s[16:17] scope:SCOPE_DEV
.LBB51_47:
	s_wait_alu 0xfffe
	s_or_b32 exec_lo, exec_lo, s3
	v_cmp_eq_u32_e32 vcc_lo, 0, v0
	s_wait_loadcnt 0x0
	s_wait_storecnt 0x0
	global_inv scope:SCOPE_DEV
	s_and_b32 exec_lo, exec_lo, vcc_lo
	s_cbranch_execz .LBB51_49
; %bb.48:
	v_add_co_u32 v0, vcc_lo, s12, v13
	s_wait_alu 0xfffd
	v_add_co_ci_u32_e64 v1, null, s13, v14, vcc_lo
	v_mov_b32_e32 v2, 1
	s_wait_loadcnt 0x0
	global_store_b32 v[0:1], v2, off scope:SCOPE_DEV
.LBB51_49:
	s_endpgm
	.section	.rodata,"a",@progbits
	.p2align	6, 0x0
	.amdhsa_kernel _ZN9rocsparseL17csrilu0_binsearchILj256ELj64ELb0E21rocsparse_complex_numIdEEEviPKiS4_PT2_S4_PiS4_S7_S7_d21rocsparse_index_base_imNS_24const_host_device_scalarIfEENS9_IdEENS9_IS5_EEb
		.amdhsa_group_segment_fixed_size 0
		.amdhsa_private_segment_fixed_size 16
		.amdhsa_kernarg_size 132
		.amdhsa_user_sgpr_count 2
		.amdhsa_user_sgpr_dispatch_ptr 0
		.amdhsa_user_sgpr_queue_ptr 0
		.amdhsa_user_sgpr_kernarg_segment_ptr 1
		.amdhsa_user_sgpr_dispatch_id 0
		.amdhsa_user_sgpr_private_segment_size 0
		.amdhsa_wavefront_size32 1
		.amdhsa_uses_dynamic_stack 0
		.amdhsa_enable_private_segment 1
		.amdhsa_system_sgpr_workgroup_id_x 1
		.amdhsa_system_sgpr_workgroup_id_y 0
		.amdhsa_system_sgpr_workgroup_id_z 0
		.amdhsa_system_sgpr_workgroup_info 0
		.amdhsa_system_vgpr_workitem_id 0
		.amdhsa_next_free_vgpr 38
		.amdhsa_next_free_sgpr 30
		.amdhsa_reserve_vcc 1
		.amdhsa_float_round_mode_32 0
		.amdhsa_float_round_mode_16_64 0
		.amdhsa_float_denorm_mode_32 3
		.amdhsa_float_denorm_mode_16_64 3
		.amdhsa_fp16_overflow 0
		.amdhsa_workgroup_processor_mode 1
		.amdhsa_memory_ordered 1
		.amdhsa_forward_progress 1
		.amdhsa_inst_pref_size 23
		.amdhsa_round_robin_scheduling 0
		.amdhsa_exception_fp_ieee_invalid_op 0
		.amdhsa_exception_fp_denorm_src 0
		.amdhsa_exception_fp_ieee_div_zero 0
		.amdhsa_exception_fp_ieee_overflow 0
		.amdhsa_exception_fp_ieee_underflow 0
		.amdhsa_exception_fp_ieee_inexact 0
		.amdhsa_exception_int_div_zero 0
	.end_amdhsa_kernel
	.section	.text._ZN9rocsparseL17csrilu0_binsearchILj256ELj64ELb0E21rocsparse_complex_numIdEEEviPKiS4_PT2_S4_PiS4_S7_S7_d21rocsparse_index_base_imNS_24const_host_device_scalarIfEENS9_IdEENS9_IS5_EEb,"axG",@progbits,_ZN9rocsparseL17csrilu0_binsearchILj256ELj64ELb0E21rocsparse_complex_numIdEEEviPKiS4_PT2_S4_PiS4_S7_S7_d21rocsparse_index_base_imNS_24const_host_device_scalarIfEENS9_IdEENS9_IS5_EEb,comdat
.Lfunc_end51:
	.size	_ZN9rocsparseL17csrilu0_binsearchILj256ELj64ELb0E21rocsparse_complex_numIdEEEviPKiS4_PT2_S4_PiS4_S7_S7_d21rocsparse_index_base_imNS_24const_host_device_scalarIfEENS9_IdEENS9_IS5_EEb, .Lfunc_end51-_ZN9rocsparseL17csrilu0_binsearchILj256ELj64ELb0E21rocsparse_complex_numIdEEEviPKiS4_PT2_S4_PiS4_S7_S7_d21rocsparse_index_base_imNS_24const_host_device_scalarIfEENS9_IdEENS9_IS5_EEb
                                        ; -- End function
	.set _ZN9rocsparseL17csrilu0_binsearchILj256ELj64ELb0E21rocsparse_complex_numIdEEEviPKiS4_PT2_S4_PiS4_S7_S7_d21rocsparse_index_base_imNS_24const_host_device_scalarIfEENS9_IdEENS9_IS5_EEb.num_vgpr, 38
	.set _ZN9rocsparseL17csrilu0_binsearchILj256ELj64ELb0E21rocsparse_complex_numIdEEEviPKiS4_PT2_S4_PiS4_S7_S7_d21rocsparse_index_base_imNS_24const_host_device_scalarIfEENS9_IdEENS9_IS5_EEb.num_agpr, 0
	.set _ZN9rocsparseL17csrilu0_binsearchILj256ELj64ELb0E21rocsparse_complex_numIdEEEviPKiS4_PT2_S4_PiS4_S7_S7_d21rocsparse_index_base_imNS_24const_host_device_scalarIfEENS9_IdEENS9_IS5_EEb.numbered_sgpr, 30
	.set _ZN9rocsparseL17csrilu0_binsearchILj256ELj64ELb0E21rocsparse_complex_numIdEEEviPKiS4_PT2_S4_PiS4_S7_S7_d21rocsparse_index_base_imNS_24const_host_device_scalarIfEENS9_IdEENS9_IS5_EEb.num_named_barrier, 0
	.set _ZN9rocsparseL17csrilu0_binsearchILj256ELj64ELb0E21rocsparse_complex_numIdEEEviPKiS4_PT2_S4_PiS4_S7_S7_d21rocsparse_index_base_imNS_24const_host_device_scalarIfEENS9_IdEENS9_IS5_EEb.private_seg_size, 16
	.set _ZN9rocsparseL17csrilu0_binsearchILj256ELj64ELb0E21rocsparse_complex_numIdEEEviPKiS4_PT2_S4_PiS4_S7_S7_d21rocsparse_index_base_imNS_24const_host_device_scalarIfEENS9_IdEENS9_IS5_EEb.uses_vcc, 1
	.set _ZN9rocsparseL17csrilu0_binsearchILj256ELj64ELb0E21rocsparse_complex_numIdEEEviPKiS4_PT2_S4_PiS4_S7_S7_d21rocsparse_index_base_imNS_24const_host_device_scalarIfEENS9_IdEENS9_IS5_EEb.uses_flat_scratch, 0
	.set _ZN9rocsparseL17csrilu0_binsearchILj256ELj64ELb0E21rocsparse_complex_numIdEEEviPKiS4_PT2_S4_PiS4_S7_S7_d21rocsparse_index_base_imNS_24const_host_device_scalarIfEENS9_IdEENS9_IS5_EEb.has_dyn_sized_stack, 0
	.set _ZN9rocsparseL17csrilu0_binsearchILj256ELj64ELb0E21rocsparse_complex_numIdEEEviPKiS4_PT2_S4_PiS4_S7_S7_d21rocsparse_index_base_imNS_24const_host_device_scalarIfEENS9_IdEENS9_IS5_EEb.has_recursion, 0
	.set _ZN9rocsparseL17csrilu0_binsearchILj256ELj64ELb0E21rocsparse_complex_numIdEEEviPKiS4_PT2_S4_PiS4_S7_S7_d21rocsparse_index_base_imNS_24const_host_device_scalarIfEENS9_IdEENS9_IS5_EEb.has_indirect_call, 0
	.section	.AMDGPU.csdata,"",@progbits
; Kernel info:
; codeLenInByte = 2888
; TotalNumSgprs: 32
; NumVgprs: 38
; ScratchSize: 16
; MemoryBound: 0
; FloatMode: 240
; IeeeMode: 1
; LDSByteSize: 0 bytes/workgroup (compile time only)
; SGPRBlocks: 0
; VGPRBlocks: 4
; NumSGPRsForWavesPerEU: 32
; NumVGPRsForWavesPerEU: 38
; Occupancy: 16
; WaveLimiterHint : 1
; COMPUTE_PGM_RSRC2:SCRATCH_EN: 1
; COMPUTE_PGM_RSRC2:USER_SGPR: 2
; COMPUTE_PGM_RSRC2:TRAP_HANDLER: 0
; COMPUTE_PGM_RSRC2:TGID_X_EN: 1
; COMPUTE_PGM_RSRC2:TGID_Y_EN: 0
; COMPUTE_PGM_RSRC2:TGID_Z_EN: 0
; COMPUTE_PGM_RSRC2:TIDIG_COMP_CNT: 0
	.section	.AMDGPU.gpr_maximums,"",@progbits
	.set amdgpu.max_num_vgpr, 0
	.set amdgpu.max_num_agpr, 0
	.set amdgpu.max_num_sgpr, 0
	.section	.AMDGPU.csdata,"",@progbits
	.type	__hip_cuid_a760c32d2bac88,@object ; @__hip_cuid_a760c32d2bac88
	.section	.bss,"aw",@nobits
	.globl	__hip_cuid_a760c32d2bac88
__hip_cuid_a760c32d2bac88:
	.byte	0                               ; 0x0
	.size	__hip_cuid_a760c32d2bac88, 1

	.ident	"AMD clang version 22.0.0git (https://github.com/RadeonOpenCompute/llvm-project roc-7.2.4 26084 f58b06dce1f9c15707c5f808fd002e18c2accf7e)"
	.section	".note.GNU-stack","",@progbits
	.addrsig
	.addrsig_sym __hip_cuid_a760c32d2bac88
	.amdgpu_metadata
---
amdhsa.kernels:
  - .args:
      - .offset:         0
        .size:           4
        .value_kind:     by_value
      - .address_space:  global
        .offset:         8
        .size:           8
        .value_kind:     global_buffer
      - .address_space:  global
        .offset:         16
        .size:           8
        .value_kind:     global_buffer
      - .address_space:  global
        .offset:         24
        .size:           8
        .value_kind:     global_buffer
      - .address_space:  global
        .offset:         32
        .size:           8
        .value_kind:     global_buffer
      - .address_space:  global
        .offset:         40
        .size:           8
        .value_kind:     global_buffer
      - .address_space:  global
        .offset:         48
        .size:           8
        .value_kind:     global_buffer
      - .address_space:  global
        .offset:         56
        .size:           8
        .value_kind:     global_buffer
      - .address_space:  global
        .offset:         64
        .size:           8
        .value_kind:     global_buffer
      - .offset:         72
        .size:           8
        .value_kind:     by_value
      - .offset:         80
        .size:           4
        .value_kind:     by_value
      - .offset:         84
        .size:           4
        .value_kind:     by_value
      - .offset:         88
        .size:           8
        .value_kind:     by_value
      - .offset:         96
        .size:           8
        .value_kind:     by_value
      - .offset:         104
        .size:           8
        .value_kind:     by_value
      - .offset:         112
        .size:           8
        .value_kind:     by_value
      - .offset:         120
        .size:           1
        .value_kind:     by_value
    .group_segment_fixed_size: 0
    .kernarg_segment_align: 8
    .kernarg_segment_size: 124
    .language:       OpenCL C
    .language_version:
      - 2
      - 0
    .max_flat_workgroup_size: 256
    .name:           _ZN9rocsparseL17csrilu0_binsearchILj256ELj64ELb1EfEEviPKiS2_PT2_S2_PiS2_S5_S5_d21rocsparse_index_base_imNS_24const_host_device_scalarIfEENS7_IdEENS7_IS3_EEb
    .private_segment_fixed_size: 0
    .sgpr_count:     33
    .sgpr_spill_count: 0
    .symbol:         _ZN9rocsparseL17csrilu0_binsearchILj256ELj64ELb1EfEEviPKiS2_PT2_S2_PiS2_S5_S5_d21rocsparse_index_base_imNS_24const_host_device_scalarIfEENS7_IdEENS7_IS3_EEb.kd
    .uniform_work_group_size: 1
    .uses_dynamic_stack: false
    .vgpr_count:     24
    .vgpr_spill_count: 0
    .wavefront_size: 32
    .workgroup_processor_mode: 1
  - .args:
      - .offset:         0
        .size:           4
        .value_kind:     by_value
      - .address_space:  global
        .offset:         8
        .size:           8
        .value_kind:     global_buffer
      - .address_space:  global
        .offset:         16
        .size:           8
        .value_kind:     global_buffer
      - .address_space:  global
        .offset:         24
        .size:           8
        .value_kind:     global_buffer
      - .address_space:  global
        .offset:         32
        .size:           8
        .value_kind:     global_buffer
      - .address_space:  global
        .offset:         40
        .size:           8
        .value_kind:     global_buffer
      - .address_space:  global
        .offset:         48
        .size:           8
        .value_kind:     global_buffer
      - .address_space:  global
        .offset:         56
        .size:           8
        .value_kind:     global_buffer
      - .address_space:  global
        .offset:         64
        .size:           8
        .value_kind:     global_buffer
      - .offset:         72
        .size:           8
        .value_kind:     by_value
      - .offset:         80
        .size:           4
        .value_kind:     by_value
      - .offset:         84
        .size:           4
        .value_kind:     by_value
      - .offset:         88
        .size:           8
        .value_kind:     by_value
      - .offset:         96
        .size:           8
        .value_kind:     by_value
      - .offset:         104
        .size:           8
        .value_kind:     by_value
      - .offset:         112
        .size:           8
        .value_kind:     by_value
      - .offset:         120
        .size:           1
        .value_kind:     by_value
    .group_segment_fixed_size: 2048
    .kernarg_segment_align: 8
    .kernarg_segment_size: 124
    .language:       OpenCL C
    .language_version:
      - 2
      - 0
    .max_flat_workgroup_size: 256
    .name:           _ZN9rocsparseL12csrilu0_hashILj256ELj32ELj1EfEEviPKiS2_PT2_S2_PiS2_S5_S5_d21rocsparse_index_base_imNS_24const_host_device_scalarIfEENS7_IdEENS7_IS3_EEb
    .private_segment_fixed_size: 0
    .sgpr_count:     44
    .sgpr_spill_count: 0
    .symbol:         _ZN9rocsparseL12csrilu0_hashILj256ELj32ELj1EfEEviPKiS2_PT2_S2_PiS2_S5_S5_d21rocsparse_index_base_imNS_24const_host_device_scalarIfEENS7_IdEENS7_IS3_EEb.kd
    .uniform_work_group_size: 1
    .uses_dynamic_stack: false
    .vgpr_count:     22
    .vgpr_spill_count: 0
    .wavefront_size: 32
    .workgroup_processor_mode: 1
  - .args:
      - .offset:         0
        .size:           4
        .value_kind:     by_value
      - .address_space:  global
        .offset:         8
        .size:           8
        .value_kind:     global_buffer
      - .address_space:  global
        .offset:         16
        .size:           8
        .value_kind:     global_buffer
      - .address_space:  global
        .offset:         24
        .size:           8
        .value_kind:     global_buffer
      - .address_space:  global
        .offset:         32
        .size:           8
        .value_kind:     global_buffer
      - .address_space:  global
        .offset:         40
        .size:           8
        .value_kind:     global_buffer
      - .address_space:  global
        .offset:         48
        .size:           8
        .value_kind:     global_buffer
      - .address_space:  global
        .offset:         56
        .size:           8
        .value_kind:     global_buffer
      - .address_space:  global
        .offset:         64
        .size:           8
        .value_kind:     global_buffer
      - .offset:         72
        .size:           8
        .value_kind:     by_value
      - .offset:         80
        .size:           4
        .value_kind:     by_value
      - .offset:         84
        .size:           4
        .value_kind:     by_value
      - .offset:         88
        .size:           8
        .value_kind:     by_value
      - .offset:         96
        .size:           8
        .value_kind:     by_value
      - .offset:         104
        .size:           8
        .value_kind:     by_value
      - .offset:         112
        .size:           8
        .value_kind:     by_value
      - .offset:         120
        .size:           1
        .value_kind:     by_value
    .group_segment_fixed_size: 4096
    .kernarg_segment_align: 8
    .kernarg_segment_size: 124
    .language:       OpenCL C
    .language_version:
      - 2
      - 0
    .max_flat_workgroup_size: 256
    .name:           _ZN9rocsparseL12csrilu0_hashILj256ELj32ELj2EfEEviPKiS2_PT2_S2_PiS2_S5_S5_d21rocsparse_index_base_imNS_24const_host_device_scalarIfEENS7_IdEENS7_IS3_EEb
    .private_segment_fixed_size: 0
    .sgpr_count:     44
    .sgpr_spill_count: 0
    .symbol:         _ZN9rocsparseL12csrilu0_hashILj256ELj32ELj2EfEEviPKiS2_PT2_S2_PiS2_S5_S5_d21rocsparse_index_base_imNS_24const_host_device_scalarIfEENS7_IdEENS7_IS3_EEb.kd
    .uniform_work_group_size: 1
    .uses_dynamic_stack: false
    .vgpr_count:     22
    .vgpr_spill_count: 0
    .wavefront_size: 32
    .workgroup_processor_mode: 1
  - .args:
      - .offset:         0
        .size:           4
        .value_kind:     by_value
      - .address_space:  global
        .offset:         8
        .size:           8
        .value_kind:     global_buffer
      - .address_space:  global
        .offset:         16
        .size:           8
        .value_kind:     global_buffer
      - .address_space:  global
        .offset:         24
        .size:           8
        .value_kind:     global_buffer
      - .address_space:  global
        .offset:         32
        .size:           8
        .value_kind:     global_buffer
      - .address_space:  global
        .offset:         40
        .size:           8
        .value_kind:     global_buffer
      - .address_space:  global
        .offset:         48
        .size:           8
        .value_kind:     global_buffer
      - .address_space:  global
        .offset:         56
        .size:           8
        .value_kind:     global_buffer
      - .address_space:  global
        .offset:         64
        .size:           8
        .value_kind:     global_buffer
      - .offset:         72
        .size:           8
        .value_kind:     by_value
      - .offset:         80
        .size:           4
        .value_kind:     by_value
      - .offset:         84
        .size:           4
        .value_kind:     by_value
      - .offset:         88
        .size:           8
        .value_kind:     by_value
      - .offset:         96
        .size:           8
        .value_kind:     by_value
      - .offset:         104
        .size:           8
        .value_kind:     by_value
      - .offset:         112
        .size:           8
        .value_kind:     by_value
      - .offset:         120
        .size:           1
        .value_kind:     by_value
    .group_segment_fixed_size: 8192
    .kernarg_segment_align: 8
    .kernarg_segment_size: 124
    .language:       OpenCL C
    .language_version:
      - 2
      - 0
    .max_flat_workgroup_size: 256
    .name:           _ZN9rocsparseL12csrilu0_hashILj256ELj32ELj4EfEEviPKiS2_PT2_S2_PiS2_S5_S5_d21rocsparse_index_base_imNS_24const_host_device_scalarIfEENS7_IdEENS7_IS3_EEb
    .private_segment_fixed_size: 0
    .sgpr_count:     44
    .sgpr_spill_count: 0
    .symbol:         _ZN9rocsparseL12csrilu0_hashILj256ELj32ELj4EfEEviPKiS2_PT2_S2_PiS2_S5_S5_d21rocsparse_index_base_imNS_24const_host_device_scalarIfEENS7_IdEENS7_IS3_EEb.kd
    .uniform_work_group_size: 1
    .uses_dynamic_stack: false
    .vgpr_count:     22
    .vgpr_spill_count: 0
    .wavefront_size: 32
    .workgroup_processor_mode: 1
  - .args:
      - .offset:         0
        .size:           4
        .value_kind:     by_value
      - .address_space:  global
        .offset:         8
        .size:           8
        .value_kind:     global_buffer
      - .address_space:  global
        .offset:         16
        .size:           8
        .value_kind:     global_buffer
      - .address_space:  global
        .offset:         24
        .size:           8
        .value_kind:     global_buffer
      - .address_space:  global
        .offset:         32
        .size:           8
        .value_kind:     global_buffer
      - .address_space:  global
        .offset:         40
        .size:           8
        .value_kind:     global_buffer
      - .address_space:  global
        .offset:         48
        .size:           8
        .value_kind:     global_buffer
      - .address_space:  global
        .offset:         56
        .size:           8
        .value_kind:     global_buffer
      - .address_space:  global
        .offset:         64
        .size:           8
        .value_kind:     global_buffer
      - .offset:         72
        .size:           8
        .value_kind:     by_value
      - .offset:         80
        .size:           4
        .value_kind:     by_value
      - .offset:         84
        .size:           4
        .value_kind:     by_value
      - .offset:         88
        .size:           8
        .value_kind:     by_value
      - .offset:         96
        .size:           8
        .value_kind:     by_value
      - .offset:         104
        .size:           8
        .value_kind:     by_value
      - .offset:         112
        .size:           8
        .value_kind:     by_value
      - .offset:         120
        .size:           1
        .value_kind:     by_value
    .group_segment_fixed_size: 16384
    .kernarg_segment_align: 8
    .kernarg_segment_size: 124
    .language:       OpenCL C
    .language_version:
      - 2
      - 0
    .max_flat_workgroup_size: 256
    .name:           _ZN9rocsparseL12csrilu0_hashILj256ELj32ELj8EfEEviPKiS2_PT2_S2_PiS2_S5_S5_d21rocsparse_index_base_imNS_24const_host_device_scalarIfEENS7_IdEENS7_IS3_EEb
    .private_segment_fixed_size: 0
    .sgpr_count:     44
    .sgpr_spill_count: 0
    .symbol:         _ZN9rocsparseL12csrilu0_hashILj256ELj32ELj8EfEEviPKiS2_PT2_S2_PiS2_S5_S5_d21rocsparse_index_base_imNS_24const_host_device_scalarIfEENS7_IdEENS7_IS3_EEb.kd
    .uniform_work_group_size: 1
    .uses_dynamic_stack: false
    .vgpr_count:     22
    .vgpr_spill_count: 0
    .wavefront_size: 32
    .workgroup_processor_mode: 1
  - .args:
      - .offset:         0
        .size:           4
        .value_kind:     by_value
      - .address_space:  global
        .offset:         8
        .size:           8
        .value_kind:     global_buffer
      - .address_space:  global
        .offset:         16
        .size:           8
        .value_kind:     global_buffer
      - .address_space:  global
        .offset:         24
        .size:           8
        .value_kind:     global_buffer
      - .address_space:  global
        .offset:         32
        .size:           8
        .value_kind:     global_buffer
      - .address_space:  global
        .offset:         40
        .size:           8
        .value_kind:     global_buffer
      - .address_space:  global
        .offset:         48
        .size:           8
        .value_kind:     global_buffer
      - .address_space:  global
        .offset:         56
        .size:           8
        .value_kind:     global_buffer
      - .address_space:  global
        .offset:         64
        .size:           8
        .value_kind:     global_buffer
      - .offset:         72
        .size:           8
        .value_kind:     by_value
      - .offset:         80
        .size:           4
        .value_kind:     by_value
      - .offset:         84
        .size:           4
        .value_kind:     by_value
      - .offset:         88
        .size:           8
        .value_kind:     by_value
      - .offset:         96
        .size:           8
        .value_kind:     by_value
      - .offset:         104
        .size:           8
        .value_kind:     by_value
      - .offset:         112
        .size:           8
        .value_kind:     by_value
      - .offset:         120
        .size:           1
        .value_kind:     by_value
    .group_segment_fixed_size: 32768
    .kernarg_segment_align: 8
    .kernarg_segment_size: 124
    .language:       OpenCL C
    .language_version:
      - 2
      - 0
    .max_flat_workgroup_size: 256
    .name:           _ZN9rocsparseL12csrilu0_hashILj256ELj32ELj16EfEEviPKiS2_PT2_S2_PiS2_S5_S5_d21rocsparse_index_base_imNS_24const_host_device_scalarIfEENS7_IdEENS7_IS3_EEb
    .private_segment_fixed_size: 0
    .sgpr_count:     44
    .sgpr_spill_count: 0
    .symbol:         _ZN9rocsparseL12csrilu0_hashILj256ELj32ELj16EfEEviPKiS2_PT2_S2_PiS2_S5_S5_d21rocsparse_index_base_imNS_24const_host_device_scalarIfEENS7_IdEENS7_IS3_EEb.kd
    .uniform_work_group_size: 1
    .uses_dynamic_stack: false
    .vgpr_count:     22
    .vgpr_spill_count: 0
    .wavefront_size: 32
    .workgroup_processor_mode: 1
  - .args:
      - .offset:         0
        .size:           4
        .value_kind:     by_value
      - .address_space:  global
        .offset:         8
        .size:           8
        .value_kind:     global_buffer
      - .address_space:  global
        .offset:         16
        .size:           8
        .value_kind:     global_buffer
      - .address_space:  global
        .offset:         24
        .size:           8
        .value_kind:     global_buffer
      - .address_space:  global
        .offset:         32
        .size:           8
        .value_kind:     global_buffer
      - .address_space:  global
        .offset:         40
        .size:           8
        .value_kind:     global_buffer
      - .address_space:  global
        .offset:         48
        .size:           8
        .value_kind:     global_buffer
      - .address_space:  global
        .offset:         56
        .size:           8
        .value_kind:     global_buffer
      - .address_space:  global
        .offset:         64
        .size:           8
        .value_kind:     global_buffer
      - .offset:         72
        .size:           8
        .value_kind:     by_value
      - .offset:         80
        .size:           4
        .value_kind:     by_value
      - .offset:         84
        .size:           4
        .value_kind:     by_value
      - .offset:         88
        .size:           8
        .value_kind:     by_value
      - .offset:         96
        .size:           8
        .value_kind:     by_value
      - .offset:         104
        .size:           8
        .value_kind:     by_value
      - .offset:         112
        .size:           8
        .value_kind:     by_value
      - .offset:         120
        .size:           1
        .value_kind:     by_value
    .group_segment_fixed_size: 0
    .kernarg_segment_align: 8
    .kernarg_segment_size: 124
    .language:       OpenCL C
    .language_version:
      - 2
      - 0
    .max_flat_workgroup_size: 256
    .name:           _ZN9rocsparseL17csrilu0_binsearchILj256ELj32ELb0EfEEviPKiS2_PT2_S2_PiS2_S5_S5_d21rocsparse_index_base_imNS_24const_host_device_scalarIfEENS7_IdEENS7_IS3_EEb
    .private_segment_fixed_size: 0
    .sgpr_count:     33
    .sgpr_spill_count: 0
    .symbol:         _ZN9rocsparseL17csrilu0_binsearchILj256ELj32ELb0EfEEviPKiS2_PT2_S2_PiS2_S5_S5_d21rocsparse_index_base_imNS_24const_host_device_scalarIfEENS7_IdEENS7_IS3_EEb.kd
    .uniform_work_group_size: 1
    .uses_dynamic_stack: false
    .vgpr_count:     24
    .vgpr_spill_count: 0
    .wavefront_size: 32
    .workgroup_processor_mode: 1
  - .args:
      - .offset:         0
        .size:           4
        .value_kind:     by_value
      - .address_space:  global
        .offset:         8
        .size:           8
        .value_kind:     global_buffer
      - .address_space:  global
        .offset:         16
        .size:           8
        .value_kind:     global_buffer
      - .address_space:  global
        .offset:         24
        .size:           8
        .value_kind:     global_buffer
      - .address_space:  global
        .offset:         32
        .size:           8
        .value_kind:     global_buffer
      - .address_space:  global
        .offset:         40
        .size:           8
        .value_kind:     global_buffer
      - .address_space:  global
        .offset:         48
        .size:           8
        .value_kind:     global_buffer
      - .address_space:  global
        .offset:         56
        .size:           8
        .value_kind:     global_buffer
      - .address_space:  global
        .offset:         64
        .size:           8
        .value_kind:     global_buffer
      - .offset:         72
        .size:           8
        .value_kind:     by_value
      - .offset:         80
        .size:           4
        .value_kind:     by_value
      - .offset:         84
        .size:           4
        .value_kind:     by_value
      - .offset:         88
        .size:           8
        .value_kind:     by_value
      - .offset:         96
        .size:           8
        .value_kind:     by_value
      - .offset:         104
        .size:           8
        .value_kind:     by_value
      - .offset:         112
        .size:           8
        .value_kind:     by_value
      - .offset:         120
        .size:           1
        .value_kind:     by_value
    .group_segment_fixed_size: 2048
    .kernarg_segment_align: 8
    .kernarg_segment_size: 124
    .language:       OpenCL C
    .language_version:
      - 2
      - 0
    .max_flat_workgroup_size: 256
    .name:           _ZN9rocsparseL12csrilu0_hashILj256ELj64ELj1EfEEviPKiS2_PT2_S2_PiS2_S5_S5_d21rocsparse_index_base_imNS_24const_host_device_scalarIfEENS7_IdEENS7_IS3_EEb
    .private_segment_fixed_size: 0
    .sgpr_count:     44
    .sgpr_spill_count: 0
    .symbol:         _ZN9rocsparseL12csrilu0_hashILj256ELj64ELj1EfEEviPKiS2_PT2_S2_PiS2_S5_S5_d21rocsparse_index_base_imNS_24const_host_device_scalarIfEENS7_IdEENS7_IS3_EEb.kd
    .uniform_work_group_size: 1
    .uses_dynamic_stack: false
    .vgpr_count:     22
    .vgpr_spill_count: 0
    .wavefront_size: 32
    .workgroup_processor_mode: 1
  - .args:
      - .offset:         0
        .size:           4
        .value_kind:     by_value
      - .address_space:  global
        .offset:         8
        .size:           8
        .value_kind:     global_buffer
      - .address_space:  global
        .offset:         16
        .size:           8
        .value_kind:     global_buffer
      - .address_space:  global
        .offset:         24
        .size:           8
        .value_kind:     global_buffer
      - .address_space:  global
        .offset:         32
        .size:           8
        .value_kind:     global_buffer
      - .address_space:  global
        .offset:         40
        .size:           8
        .value_kind:     global_buffer
      - .address_space:  global
        .offset:         48
        .size:           8
        .value_kind:     global_buffer
      - .address_space:  global
        .offset:         56
        .size:           8
        .value_kind:     global_buffer
      - .address_space:  global
        .offset:         64
        .size:           8
        .value_kind:     global_buffer
      - .offset:         72
        .size:           8
        .value_kind:     by_value
      - .offset:         80
        .size:           4
        .value_kind:     by_value
      - .offset:         84
        .size:           4
        .value_kind:     by_value
      - .offset:         88
        .size:           8
        .value_kind:     by_value
      - .offset:         96
        .size:           8
        .value_kind:     by_value
      - .offset:         104
        .size:           8
        .value_kind:     by_value
      - .offset:         112
        .size:           8
        .value_kind:     by_value
      - .offset:         120
        .size:           1
        .value_kind:     by_value
    .group_segment_fixed_size: 4096
    .kernarg_segment_align: 8
    .kernarg_segment_size: 124
    .language:       OpenCL C
    .language_version:
      - 2
      - 0
    .max_flat_workgroup_size: 256
    .name:           _ZN9rocsparseL12csrilu0_hashILj256ELj64ELj2EfEEviPKiS2_PT2_S2_PiS2_S5_S5_d21rocsparse_index_base_imNS_24const_host_device_scalarIfEENS7_IdEENS7_IS3_EEb
    .private_segment_fixed_size: 0
    .sgpr_count:     44
    .sgpr_spill_count: 0
    .symbol:         _ZN9rocsparseL12csrilu0_hashILj256ELj64ELj2EfEEviPKiS2_PT2_S2_PiS2_S5_S5_d21rocsparse_index_base_imNS_24const_host_device_scalarIfEENS7_IdEENS7_IS3_EEb.kd
    .uniform_work_group_size: 1
    .uses_dynamic_stack: false
    .vgpr_count:     22
    .vgpr_spill_count: 0
    .wavefront_size: 32
    .workgroup_processor_mode: 1
  - .args:
      - .offset:         0
        .size:           4
        .value_kind:     by_value
      - .address_space:  global
        .offset:         8
        .size:           8
        .value_kind:     global_buffer
      - .address_space:  global
        .offset:         16
        .size:           8
        .value_kind:     global_buffer
      - .address_space:  global
        .offset:         24
        .size:           8
        .value_kind:     global_buffer
      - .address_space:  global
        .offset:         32
        .size:           8
        .value_kind:     global_buffer
      - .address_space:  global
        .offset:         40
        .size:           8
        .value_kind:     global_buffer
      - .address_space:  global
        .offset:         48
        .size:           8
        .value_kind:     global_buffer
      - .address_space:  global
        .offset:         56
        .size:           8
        .value_kind:     global_buffer
      - .address_space:  global
        .offset:         64
        .size:           8
        .value_kind:     global_buffer
      - .offset:         72
        .size:           8
        .value_kind:     by_value
      - .offset:         80
        .size:           4
        .value_kind:     by_value
      - .offset:         84
        .size:           4
        .value_kind:     by_value
      - .offset:         88
        .size:           8
        .value_kind:     by_value
      - .offset:         96
        .size:           8
        .value_kind:     by_value
      - .offset:         104
        .size:           8
        .value_kind:     by_value
      - .offset:         112
        .size:           8
        .value_kind:     by_value
      - .offset:         120
        .size:           1
        .value_kind:     by_value
    .group_segment_fixed_size: 8192
    .kernarg_segment_align: 8
    .kernarg_segment_size: 124
    .language:       OpenCL C
    .language_version:
      - 2
      - 0
    .max_flat_workgroup_size: 256
    .name:           _ZN9rocsparseL12csrilu0_hashILj256ELj64ELj4EfEEviPKiS2_PT2_S2_PiS2_S5_S5_d21rocsparse_index_base_imNS_24const_host_device_scalarIfEENS7_IdEENS7_IS3_EEb
    .private_segment_fixed_size: 0
    .sgpr_count:     44
    .sgpr_spill_count: 0
    .symbol:         _ZN9rocsparseL12csrilu0_hashILj256ELj64ELj4EfEEviPKiS2_PT2_S2_PiS2_S5_S5_d21rocsparse_index_base_imNS_24const_host_device_scalarIfEENS7_IdEENS7_IS3_EEb.kd
    .uniform_work_group_size: 1
    .uses_dynamic_stack: false
    .vgpr_count:     22
    .vgpr_spill_count: 0
    .wavefront_size: 32
    .workgroup_processor_mode: 1
  - .args:
      - .offset:         0
        .size:           4
        .value_kind:     by_value
      - .address_space:  global
        .offset:         8
        .size:           8
        .value_kind:     global_buffer
      - .address_space:  global
        .offset:         16
        .size:           8
        .value_kind:     global_buffer
      - .address_space:  global
        .offset:         24
        .size:           8
        .value_kind:     global_buffer
      - .address_space:  global
        .offset:         32
        .size:           8
        .value_kind:     global_buffer
      - .address_space:  global
        .offset:         40
        .size:           8
        .value_kind:     global_buffer
      - .address_space:  global
        .offset:         48
        .size:           8
        .value_kind:     global_buffer
      - .address_space:  global
        .offset:         56
        .size:           8
        .value_kind:     global_buffer
      - .address_space:  global
        .offset:         64
        .size:           8
        .value_kind:     global_buffer
      - .offset:         72
        .size:           8
        .value_kind:     by_value
      - .offset:         80
        .size:           4
        .value_kind:     by_value
      - .offset:         84
        .size:           4
        .value_kind:     by_value
      - .offset:         88
        .size:           8
        .value_kind:     by_value
      - .offset:         96
        .size:           8
        .value_kind:     by_value
      - .offset:         104
        .size:           8
        .value_kind:     by_value
      - .offset:         112
        .size:           8
        .value_kind:     by_value
      - .offset:         120
        .size:           1
        .value_kind:     by_value
    .group_segment_fixed_size: 16384
    .kernarg_segment_align: 8
    .kernarg_segment_size: 124
    .language:       OpenCL C
    .language_version:
      - 2
      - 0
    .max_flat_workgroup_size: 256
    .name:           _ZN9rocsparseL12csrilu0_hashILj256ELj64ELj8EfEEviPKiS2_PT2_S2_PiS2_S5_S5_d21rocsparse_index_base_imNS_24const_host_device_scalarIfEENS7_IdEENS7_IS3_EEb
    .private_segment_fixed_size: 0
    .sgpr_count:     44
    .sgpr_spill_count: 0
    .symbol:         _ZN9rocsparseL12csrilu0_hashILj256ELj64ELj8EfEEviPKiS2_PT2_S2_PiS2_S5_S5_d21rocsparse_index_base_imNS_24const_host_device_scalarIfEENS7_IdEENS7_IS3_EEb.kd
    .uniform_work_group_size: 1
    .uses_dynamic_stack: false
    .vgpr_count:     22
    .vgpr_spill_count: 0
    .wavefront_size: 32
    .workgroup_processor_mode: 1
  - .args:
      - .offset:         0
        .size:           4
        .value_kind:     by_value
      - .address_space:  global
        .offset:         8
        .size:           8
        .value_kind:     global_buffer
      - .address_space:  global
        .offset:         16
        .size:           8
        .value_kind:     global_buffer
      - .address_space:  global
        .offset:         24
        .size:           8
        .value_kind:     global_buffer
      - .address_space:  global
        .offset:         32
        .size:           8
        .value_kind:     global_buffer
      - .address_space:  global
        .offset:         40
        .size:           8
        .value_kind:     global_buffer
      - .address_space:  global
        .offset:         48
        .size:           8
        .value_kind:     global_buffer
      - .address_space:  global
        .offset:         56
        .size:           8
        .value_kind:     global_buffer
      - .address_space:  global
        .offset:         64
        .size:           8
        .value_kind:     global_buffer
      - .offset:         72
        .size:           8
        .value_kind:     by_value
      - .offset:         80
        .size:           4
        .value_kind:     by_value
      - .offset:         84
        .size:           4
        .value_kind:     by_value
      - .offset:         88
        .size:           8
        .value_kind:     by_value
      - .offset:         96
        .size:           8
        .value_kind:     by_value
      - .offset:         104
        .size:           8
        .value_kind:     by_value
      - .offset:         112
        .size:           8
        .value_kind:     by_value
      - .offset:         120
        .size:           1
        .value_kind:     by_value
    .group_segment_fixed_size: 32768
    .kernarg_segment_align: 8
    .kernarg_segment_size: 124
    .language:       OpenCL C
    .language_version:
      - 2
      - 0
    .max_flat_workgroup_size: 256
    .name:           _ZN9rocsparseL12csrilu0_hashILj256ELj64ELj16EfEEviPKiS2_PT2_S2_PiS2_S5_S5_d21rocsparse_index_base_imNS_24const_host_device_scalarIfEENS7_IdEENS7_IS3_EEb
    .private_segment_fixed_size: 0
    .sgpr_count:     44
    .sgpr_spill_count: 0
    .symbol:         _ZN9rocsparseL12csrilu0_hashILj256ELj64ELj16EfEEviPKiS2_PT2_S2_PiS2_S5_S5_d21rocsparse_index_base_imNS_24const_host_device_scalarIfEENS7_IdEENS7_IS3_EEb.kd
    .uniform_work_group_size: 1
    .uses_dynamic_stack: false
    .vgpr_count:     22
    .vgpr_spill_count: 0
    .wavefront_size: 32
    .workgroup_processor_mode: 1
  - .args:
      - .offset:         0
        .size:           4
        .value_kind:     by_value
      - .address_space:  global
        .offset:         8
        .size:           8
        .value_kind:     global_buffer
      - .address_space:  global
        .offset:         16
        .size:           8
        .value_kind:     global_buffer
      - .address_space:  global
        .offset:         24
        .size:           8
        .value_kind:     global_buffer
      - .address_space:  global
        .offset:         32
        .size:           8
        .value_kind:     global_buffer
      - .address_space:  global
        .offset:         40
        .size:           8
        .value_kind:     global_buffer
      - .address_space:  global
        .offset:         48
        .size:           8
        .value_kind:     global_buffer
      - .address_space:  global
        .offset:         56
        .size:           8
        .value_kind:     global_buffer
      - .address_space:  global
        .offset:         64
        .size:           8
        .value_kind:     global_buffer
      - .offset:         72
        .size:           8
        .value_kind:     by_value
      - .offset:         80
        .size:           4
        .value_kind:     by_value
      - .offset:         84
        .size:           4
        .value_kind:     by_value
      - .offset:         88
        .size:           8
        .value_kind:     by_value
      - .offset:         96
        .size:           8
        .value_kind:     by_value
      - .offset:         104
        .size:           8
        .value_kind:     by_value
      - .offset:         112
        .size:           8
        .value_kind:     by_value
      - .offset:         120
        .size:           1
        .value_kind:     by_value
    .group_segment_fixed_size: 0
    .kernarg_segment_align: 8
    .kernarg_segment_size: 124
    .language:       OpenCL C
    .language_version:
      - 2
      - 0
    .max_flat_workgroup_size: 256
    .name:           _ZN9rocsparseL17csrilu0_binsearchILj256ELj64ELb0EfEEviPKiS2_PT2_S2_PiS2_S5_S5_d21rocsparse_index_base_imNS_24const_host_device_scalarIfEENS7_IdEENS7_IS3_EEb
    .private_segment_fixed_size: 0
    .sgpr_count:     33
    .sgpr_spill_count: 0
    .symbol:         _ZN9rocsparseL17csrilu0_binsearchILj256ELj64ELb0EfEEviPKiS2_PT2_S2_PiS2_S5_S5_d21rocsparse_index_base_imNS_24const_host_device_scalarIfEENS7_IdEENS7_IS3_EEb.kd
    .uniform_work_group_size: 1
    .uses_dynamic_stack: false
    .vgpr_count:     24
    .vgpr_spill_count: 0
    .wavefront_size: 32
    .workgroup_processor_mode: 1
  - .args:
      - .offset:         0
        .size:           4
        .value_kind:     by_value
      - .address_space:  global
        .offset:         8
        .size:           8
        .value_kind:     global_buffer
      - .address_space:  global
        .offset:         16
        .size:           8
        .value_kind:     global_buffer
      - .address_space:  global
        .offset:         24
        .size:           8
        .value_kind:     global_buffer
      - .address_space:  global
        .offset:         32
        .size:           8
        .value_kind:     global_buffer
      - .address_space:  global
        .offset:         40
        .size:           8
        .value_kind:     global_buffer
      - .address_space:  global
        .offset:         48
        .size:           8
        .value_kind:     global_buffer
      - .address_space:  global
        .offset:         56
        .size:           8
        .value_kind:     global_buffer
      - .address_space:  global
        .offset:         64
        .size:           8
        .value_kind:     global_buffer
      - .offset:         72
        .size:           8
        .value_kind:     by_value
      - .offset:         80
        .size:           4
        .value_kind:     by_value
      - .offset:         84
        .size:           4
        .value_kind:     by_value
      - .offset:         88
        .size:           8
        .value_kind:     by_value
      - .offset:         96
        .size:           8
        .value_kind:     by_value
      - .offset:         104
        .size:           8
        .value_kind:     by_value
      - .offset:         112
        .size:           8
        .value_kind:     by_value
      - .offset:         120
        .size:           1
        .value_kind:     by_value
    .group_segment_fixed_size: 0
    .kernarg_segment_align: 8
    .kernarg_segment_size: 124
    .language:       OpenCL C
    .language_version:
      - 2
      - 0
    .max_flat_workgroup_size: 256
    .name:           _ZN9rocsparseL17csrilu0_binsearchILj256ELj64ELb1EdEEviPKiS2_PT2_S2_PiS2_S5_S5_d21rocsparse_index_base_imNS_24const_host_device_scalarIfEENS7_IdEENS7_IS3_EEb
    .private_segment_fixed_size: 0
    .sgpr_count:     33
    .sgpr_spill_count: 0
    .symbol:         _ZN9rocsparseL17csrilu0_binsearchILj256ELj64ELb1EdEEviPKiS2_PT2_S2_PiS2_S5_S5_d21rocsparse_index_base_imNS_24const_host_device_scalarIfEENS7_IdEENS7_IS3_EEb.kd
    .uniform_work_group_size: 1
    .uses_dynamic_stack: false
    .vgpr_count:     29
    .vgpr_spill_count: 0
    .wavefront_size: 32
    .workgroup_processor_mode: 1
  - .args:
      - .offset:         0
        .size:           4
        .value_kind:     by_value
      - .address_space:  global
        .offset:         8
        .size:           8
        .value_kind:     global_buffer
      - .address_space:  global
        .offset:         16
        .size:           8
        .value_kind:     global_buffer
      - .address_space:  global
        .offset:         24
        .size:           8
        .value_kind:     global_buffer
      - .address_space:  global
        .offset:         32
        .size:           8
        .value_kind:     global_buffer
      - .address_space:  global
        .offset:         40
        .size:           8
        .value_kind:     global_buffer
      - .address_space:  global
        .offset:         48
        .size:           8
        .value_kind:     global_buffer
      - .address_space:  global
        .offset:         56
        .size:           8
        .value_kind:     global_buffer
      - .address_space:  global
        .offset:         64
        .size:           8
        .value_kind:     global_buffer
      - .offset:         72
        .size:           8
        .value_kind:     by_value
      - .offset:         80
        .size:           4
        .value_kind:     by_value
      - .offset:         84
        .size:           4
        .value_kind:     by_value
      - .offset:         88
        .size:           8
        .value_kind:     by_value
      - .offset:         96
        .size:           8
        .value_kind:     by_value
      - .offset:         104
        .size:           8
        .value_kind:     by_value
      - .offset:         112
        .size:           8
        .value_kind:     by_value
      - .offset:         120
        .size:           1
        .value_kind:     by_value
    .group_segment_fixed_size: 2048
    .kernarg_segment_align: 8
    .kernarg_segment_size: 124
    .language:       OpenCL C
    .language_version:
      - 2
      - 0
    .max_flat_workgroup_size: 256
    .name:           _ZN9rocsparseL12csrilu0_hashILj256ELj32ELj1EdEEviPKiS2_PT2_S2_PiS2_S5_S5_d21rocsparse_index_base_imNS_24const_host_device_scalarIfEENS7_IdEENS7_IS3_EEb
    .private_segment_fixed_size: 0
    .sgpr_count:     43
    .sgpr_spill_count: 0
    .symbol:         _ZN9rocsparseL12csrilu0_hashILj256ELj32ELj1EdEEviPKiS2_PT2_S2_PiS2_S5_S5_d21rocsparse_index_base_imNS_24const_host_device_scalarIfEENS7_IdEENS7_IS3_EEb.kd
    .uniform_work_group_size: 1
    .uses_dynamic_stack: false
    .vgpr_count:     30
    .vgpr_spill_count: 0
    .wavefront_size: 32
    .workgroup_processor_mode: 1
  - .args:
      - .offset:         0
        .size:           4
        .value_kind:     by_value
      - .address_space:  global
        .offset:         8
        .size:           8
        .value_kind:     global_buffer
      - .address_space:  global
        .offset:         16
        .size:           8
        .value_kind:     global_buffer
      - .address_space:  global
        .offset:         24
        .size:           8
        .value_kind:     global_buffer
      - .address_space:  global
        .offset:         32
        .size:           8
        .value_kind:     global_buffer
      - .address_space:  global
        .offset:         40
        .size:           8
        .value_kind:     global_buffer
      - .address_space:  global
        .offset:         48
        .size:           8
        .value_kind:     global_buffer
      - .address_space:  global
        .offset:         56
        .size:           8
        .value_kind:     global_buffer
      - .address_space:  global
        .offset:         64
        .size:           8
        .value_kind:     global_buffer
      - .offset:         72
        .size:           8
        .value_kind:     by_value
      - .offset:         80
        .size:           4
        .value_kind:     by_value
      - .offset:         84
        .size:           4
        .value_kind:     by_value
      - .offset:         88
        .size:           8
        .value_kind:     by_value
      - .offset:         96
        .size:           8
        .value_kind:     by_value
      - .offset:         104
        .size:           8
        .value_kind:     by_value
      - .offset:         112
        .size:           8
        .value_kind:     by_value
      - .offset:         120
        .size:           1
        .value_kind:     by_value
    .group_segment_fixed_size: 4096
    .kernarg_segment_align: 8
    .kernarg_segment_size: 124
    .language:       OpenCL C
    .language_version:
      - 2
      - 0
    .max_flat_workgroup_size: 256
    .name:           _ZN9rocsparseL12csrilu0_hashILj256ELj32ELj2EdEEviPKiS2_PT2_S2_PiS2_S5_S5_d21rocsparse_index_base_imNS_24const_host_device_scalarIfEENS7_IdEENS7_IS3_EEb
    .private_segment_fixed_size: 0
    .sgpr_count:     43
    .sgpr_spill_count: 0
    .symbol:         _ZN9rocsparseL12csrilu0_hashILj256ELj32ELj2EdEEviPKiS2_PT2_S2_PiS2_S5_S5_d21rocsparse_index_base_imNS_24const_host_device_scalarIfEENS7_IdEENS7_IS3_EEb.kd
    .uniform_work_group_size: 1
    .uses_dynamic_stack: false
    .vgpr_count:     30
    .vgpr_spill_count: 0
    .wavefront_size: 32
    .workgroup_processor_mode: 1
  - .args:
      - .offset:         0
        .size:           4
        .value_kind:     by_value
      - .address_space:  global
        .offset:         8
        .size:           8
        .value_kind:     global_buffer
      - .address_space:  global
        .offset:         16
        .size:           8
        .value_kind:     global_buffer
      - .address_space:  global
        .offset:         24
        .size:           8
        .value_kind:     global_buffer
      - .address_space:  global
        .offset:         32
        .size:           8
        .value_kind:     global_buffer
      - .address_space:  global
        .offset:         40
        .size:           8
        .value_kind:     global_buffer
      - .address_space:  global
        .offset:         48
        .size:           8
        .value_kind:     global_buffer
      - .address_space:  global
        .offset:         56
        .size:           8
        .value_kind:     global_buffer
      - .address_space:  global
        .offset:         64
        .size:           8
        .value_kind:     global_buffer
      - .offset:         72
        .size:           8
        .value_kind:     by_value
      - .offset:         80
        .size:           4
        .value_kind:     by_value
      - .offset:         84
        .size:           4
        .value_kind:     by_value
      - .offset:         88
        .size:           8
        .value_kind:     by_value
      - .offset:         96
        .size:           8
        .value_kind:     by_value
      - .offset:         104
        .size:           8
        .value_kind:     by_value
      - .offset:         112
        .size:           8
        .value_kind:     by_value
      - .offset:         120
        .size:           1
        .value_kind:     by_value
    .group_segment_fixed_size: 8192
    .kernarg_segment_align: 8
    .kernarg_segment_size: 124
    .language:       OpenCL C
    .language_version:
      - 2
      - 0
    .max_flat_workgroup_size: 256
    .name:           _ZN9rocsparseL12csrilu0_hashILj256ELj32ELj4EdEEviPKiS2_PT2_S2_PiS2_S5_S5_d21rocsparse_index_base_imNS_24const_host_device_scalarIfEENS7_IdEENS7_IS3_EEb
    .private_segment_fixed_size: 0
    .sgpr_count:     43
    .sgpr_spill_count: 0
    .symbol:         _ZN9rocsparseL12csrilu0_hashILj256ELj32ELj4EdEEviPKiS2_PT2_S2_PiS2_S5_S5_d21rocsparse_index_base_imNS_24const_host_device_scalarIfEENS7_IdEENS7_IS3_EEb.kd
    .uniform_work_group_size: 1
    .uses_dynamic_stack: false
    .vgpr_count:     30
    .vgpr_spill_count: 0
    .wavefront_size: 32
    .workgroup_processor_mode: 1
  - .args:
      - .offset:         0
        .size:           4
        .value_kind:     by_value
      - .address_space:  global
        .offset:         8
        .size:           8
        .value_kind:     global_buffer
      - .address_space:  global
        .offset:         16
        .size:           8
        .value_kind:     global_buffer
      - .address_space:  global
        .offset:         24
        .size:           8
        .value_kind:     global_buffer
      - .address_space:  global
        .offset:         32
        .size:           8
        .value_kind:     global_buffer
      - .address_space:  global
        .offset:         40
        .size:           8
        .value_kind:     global_buffer
      - .address_space:  global
        .offset:         48
        .size:           8
        .value_kind:     global_buffer
      - .address_space:  global
        .offset:         56
        .size:           8
        .value_kind:     global_buffer
      - .address_space:  global
        .offset:         64
        .size:           8
        .value_kind:     global_buffer
      - .offset:         72
        .size:           8
        .value_kind:     by_value
      - .offset:         80
        .size:           4
        .value_kind:     by_value
      - .offset:         84
        .size:           4
        .value_kind:     by_value
      - .offset:         88
        .size:           8
        .value_kind:     by_value
      - .offset:         96
        .size:           8
        .value_kind:     by_value
      - .offset:         104
        .size:           8
        .value_kind:     by_value
      - .offset:         112
        .size:           8
        .value_kind:     by_value
      - .offset:         120
        .size:           1
        .value_kind:     by_value
    .group_segment_fixed_size: 16384
    .kernarg_segment_align: 8
    .kernarg_segment_size: 124
    .language:       OpenCL C
    .language_version:
      - 2
      - 0
    .max_flat_workgroup_size: 256
    .name:           _ZN9rocsparseL12csrilu0_hashILj256ELj32ELj8EdEEviPKiS2_PT2_S2_PiS2_S5_S5_d21rocsparse_index_base_imNS_24const_host_device_scalarIfEENS7_IdEENS7_IS3_EEb
    .private_segment_fixed_size: 0
    .sgpr_count:     43
    .sgpr_spill_count: 0
    .symbol:         _ZN9rocsparseL12csrilu0_hashILj256ELj32ELj8EdEEviPKiS2_PT2_S2_PiS2_S5_S5_d21rocsparse_index_base_imNS_24const_host_device_scalarIfEENS7_IdEENS7_IS3_EEb.kd
    .uniform_work_group_size: 1
    .uses_dynamic_stack: false
    .vgpr_count:     30
    .vgpr_spill_count: 0
    .wavefront_size: 32
    .workgroup_processor_mode: 1
  - .args:
      - .offset:         0
        .size:           4
        .value_kind:     by_value
      - .address_space:  global
        .offset:         8
        .size:           8
        .value_kind:     global_buffer
      - .address_space:  global
        .offset:         16
        .size:           8
        .value_kind:     global_buffer
      - .address_space:  global
        .offset:         24
        .size:           8
        .value_kind:     global_buffer
      - .address_space:  global
        .offset:         32
        .size:           8
        .value_kind:     global_buffer
      - .address_space:  global
        .offset:         40
        .size:           8
        .value_kind:     global_buffer
      - .address_space:  global
        .offset:         48
        .size:           8
        .value_kind:     global_buffer
      - .address_space:  global
        .offset:         56
        .size:           8
        .value_kind:     global_buffer
      - .address_space:  global
        .offset:         64
        .size:           8
        .value_kind:     global_buffer
      - .offset:         72
        .size:           8
        .value_kind:     by_value
      - .offset:         80
        .size:           4
        .value_kind:     by_value
      - .offset:         84
        .size:           4
        .value_kind:     by_value
      - .offset:         88
        .size:           8
        .value_kind:     by_value
      - .offset:         96
        .size:           8
        .value_kind:     by_value
      - .offset:         104
        .size:           8
        .value_kind:     by_value
      - .offset:         112
        .size:           8
        .value_kind:     by_value
      - .offset:         120
        .size:           1
        .value_kind:     by_value
    .group_segment_fixed_size: 32768
    .kernarg_segment_align: 8
    .kernarg_segment_size: 124
    .language:       OpenCL C
    .language_version:
      - 2
      - 0
    .max_flat_workgroup_size: 256
    .name:           _ZN9rocsparseL12csrilu0_hashILj256ELj32ELj16EdEEviPKiS2_PT2_S2_PiS2_S5_S5_d21rocsparse_index_base_imNS_24const_host_device_scalarIfEENS7_IdEENS7_IS3_EEb
    .private_segment_fixed_size: 0
    .sgpr_count:     43
    .sgpr_spill_count: 0
    .symbol:         _ZN9rocsparseL12csrilu0_hashILj256ELj32ELj16EdEEviPKiS2_PT2_S2_PiS2_S5_S5_d21rocsparse_index_base_imNS_24const_host_device_scalarIfEENS7_IdEENS7_IS3_EEb.kd
    .uniform_work_group_size: 1
    .uses_dynamic_stack: false
    .vgpr_count:     30
    .vgpr_spill_count: 0
    .wavefront_size: 32
    .workgroup_processor_mode: 1
  - .args:
      - .offset:         0
        .size:           4
        .value_kind:     by_value
      - .address_space:  global
        .offset:         8
        .size:           8
        .value_kind:     global_buffer
      - .address_space:  global
        .offset:         16
        .size:           8
        .value_kind:     global_buffer
      - .address_space:  global
        .offset:         24
        .size:           8
        .value_kind:     global_buffer
      - .address_space:  global
        .offset:         32
        .size:           8
        .value_kind:     global_buffer
      - .address_space:  global
        .offset:         40
        .size:           8
        .value_kind:     global_buffer
      - .address_space:  global
        .offset:         48
        .size:           8
        .value_kind:     global_buffer
      - .address_space:  global
        .offset:         56
        .size:           8
        .value_kind:     global_buffer
      - .address_space:  global
        .offset:         64
        .size:           8
        .value_kind:     global_buffer
      - .offset:         72
        .size:           8
        .value_kind:     by_value
      - .offset:         80
        .size:           4
        .value_kind:     by_value
      - .offset:         84
        .size:           4
        .value_kind:     by_value
      - .offset:         88
        .size:           8
        .value_kind:     by_value
      - .offset:         96
        .size:           8
        .value_kind:     by_value
      - .offset:         104
        .size:           8
        .value_kind:     by_value
      - .offset:         112
        .size:           8
        .value_kind:     by_value
      - .offset:         120
        .size:           1
        .value_kind:     by_value
    .group_segment_fixed_size: 0
    .kernarg_segment_align: 8
    .kernarg_segment_size: 124
    .language:       OpenCL C
    .language_version:
      - 2
      - 0
    .max_flat_workgroup_size: 256
    .name:           _ZN9rocsparseL17csrilu0_binsearchILj256ELj32ELb0EdEEviPKiS2_PT2_S2_PiS2_S5_S5_d21rocsparse_index_base_imNS_24const_host_device_scalarIfEENS7_IdEENS7_IS3_EEb
    .private_segment_fixed_size: 0
    .sgpr_count:     33
    .sgpr_spill_count: 0
    .symbol:         _ZN9rocsparseL17csrilu0_binsearchILj256ELj32ELb0EdEEviPKiS2_PT2_S2_PiS2_S5_S5_d21rocsparse_index_base_imNS_24const_host_device_scalarIfEENS7_IdEENS7_IS3_EEb.kd
    .uniform_work_group_size: 1
    .uses_dynamic_stack: false
    .vgpr_count:     29
    .vgpr_spill_count: 0
    .wavefront_size: 32
    .workgroup_processor_mode: 1
  - .args:
      - .offset:         0
        .size:           4
        .value_kind:     by_value
      - .address_space:  global
        .offset:         8
        .size:           8
        .value_kind:     global_buffer
      - .address_space:  global
        .offset:         16
        .size:           8
        .value_kind:     global_buffer
      - .address_space:  global
        .offset:         24
        .size:           8
        .value_kind:     global_buffer
      - .address_space:  global
        .offset:         32
        .size:           8
        .value_kind:     global_buffer
      - .address_space:  global
        .offset:         40
        .size:           8
        .value_kind:     global_buffer
      - .address_space:  global
        .offset:         48
        .size:           8
        .value_kind:     global_buffer
      - .address_space:  global
        .offset:         56
        .size:           8
        .value_kind:     global_buffer
      - .address_space:  global
        .offset:         64
        .size:           8
        .value_kind:     global_buffer
      - .offset:         72
        .size:           8
        .value_kind:     by_value
      - .offset:         80
        .size:           4
        .value_kind:     by_value
      - .offset:         84
        .size:           4
        .value_kind:     by_value
      - .offset:         88
        .size:           8
        .value_kind:     by_value
      - .offset:         96
        .size:           8
        .value_kind:     by_value
      - .offset:         104
        .size:           8
        .value_kind:     by_value
      - .offset:         112
        .size:           8
        .value_kind:     by_value
      - .offset:         120
        .size:           1
        .value_kind:     by_value
    .group_segment_fixed_size: 2048
    .kernarg_segment_align: 8
    .kernarg_segment_size: 124
    .language:       OpenCL C
    .language_version:
      - 2
      - 0
    .max_flat_workgroup_size: 256
    .name:           _ZN9rocsparseL12csrilu0_hashILj256ELj64ELj1EdEEviPKiS2_PT2_S2_PiS2_S5_S5_d21rocsparse_index_base_imNS_24const_host_device_scalarIfEENS7_IdEENS7_IS3_EEb
    .private_segment_fixed_size: 0
    .sgpr_count:     43
    .sgpr_spill_count: 0
    .symbol:         _ZN9rocsparseL12csrilu0_hashILj256ELj64ELj1EdEEviPKiS2_PT2_S2_PiS2_S5_S5_d21rocsparse_index_base_imNS_24const_host_device_scalarIfEENS7_IdEENS7_IS3_EEb.kd
    .uniform_work_group_size: 1
    .uses_dynamic_stack: false
    .vgpr_count:     30
    .vgpr_spill_count: 0
    .wavefront_size: 32
    .workgroup_processor_mode: 1
  - .args:
      - .offset:         0
        .size:           4
        .value_kind:     by_value
      - .address_space:  global
        .offset:         8
        .size:           8
        .value_kind:     global_buffer
      - .address_space:  global
        .offset:         16
        .size:           8
        .value_kind:     global_buffer
      - .address_space:  global
        .offset:         24
        .size:           8
        .value_kind:     global_buffer
      - .address_space:  global
        .offset:         32
        .size:           8
        .value_kind:     global_buffer
      - .address_space:  global
        .offset:         40
        .size:           8
        .value_kind:     global_buffer
      - .address_space:  global
        .offset:         48
        .size:           8
        .value_kind:     global_buffer
      - .address_space:  global
        .offset:         56
        .size:           8
        .value_kind:     global_buffer
      - .address_space:  global
        .offset:         64
        .size:           8
        .value_kind:     global_buffer
      - .offset:         72
        .size:           8
        .value_kind:     by_value
      - .offset:         80
        .size:           4
        .value_kind:     by_value
      - .offset:         84
        .size:           4
        .value_kind:     by_value
      - .offset:         88
        .size:           8
        .value_kind:     by_value
      - .offset:         96
        .size:           8
        .value_kind:     by_value
      - .offset:         104
        .size:           8
        .value_kind:     by_value
      - .offset:         112
        .size:           8
        .value_kind:     by_value
      - .offset:         120
        .size:           1
        .value_kind:     by_value
    .group_segment_fixed_size: 4096
    .kernarg_segment_align: 8
    .kernarg_segment_size: 124
    .language:       OpenCL C
    .language_version:
      - 2
      - 0
    .max_flat_workgroup_size: 256
    .name:           _ZN9rocsparseL12csrilu0_hashILj256ELj64ELj2EdEEviPKiS2_PT2_S2_PiS2_S5_S5_d21rocsparse_index_base_imNS_24const_host_device_scalarIfEENS7_IdEENS7_IS3_EEb
    .private_segment_fixed_size: 0
    .sgpr_count:     43
    .sgpr_spill_count: 0
    .symbol:         _ZN9rocsparseL12csrilu0_hashILj256ELj64ELj2EdEEviPKiS2_PT2_S2_PiS2_S5_S5_d21rocsparse_index_base_imNS_24const_host_device_scalarIfEENS7_IdEENS7_IS3_EEb.kd
    .uniform_work_group_size: 1
    .uses_dynamic_stack: false
    .vgpr_count:     30
    .vgpr_spill_count: 0
    .wavefront_size: 32
    .workgroup_processor_mode: 1
  - .args:
      - .offset:         0
        .size:           4
        .value_kind:     by_value
      - .address_space:  global
        .offset:         8
        .size:           8
        .value_kind:     global_buffer
      - .address_space:  global
        .offset:         16
        .size:           8
        .value_kind:     global_buffer
      - .address_space:  global
        .offset:         24
        .size:           8
        .value_kind:     global_buffer
      - .address_space:  global
        .offset:         32
        .size:           8
        .value_kind:     global_buffer
      - .address_space:  global
        .offset:         40
        .size:           8
        .value_kind:     global_buffer
      - .address_space:  global
        .offset:         48
        .size:           8
        .value_kind:     global_buffer
      - .address_space:  global
        .offset:         56
        .size:           8
        .value_kind:     global_buffer
      - .address_space:  global
        .offset:         64
        .size:           8
        .value_kind:     global_buffer
      - .offset:         72
        .size:           8
        .value_kind:     by_value
      - .offset:         80
        .size:           4
        .value_kind:     by_value
      - .offset:         84
        .size:           4
        .value_kind:     by_value
      - .offset:         88
        .size:           8
        .value_kind:     by_value
      - .offset:         96
        .size:           8
        .value_kind:     by_value
      - .offset:         104
        .size:           8
        .value_kind:     by_value
      - .offset:         112
        .size:           8
        .value_kind:     by_value
      - .offset:         120
        .size:           1
        .value_kind:     by_value
    .group_segment_fixed_size: 8192
    .kernarg_segment_align: 8
    .kernarg_segment_size: 124
    .language:       OpenCL C
    .language_version:
      - 2
      - 0
    .max_flat_workgroup_size: 256
    .name:           _ZN9rocsparseL12csrilu0_hashILj256ELj64ELj4EdEEviPKiS2_PT2_S2_PiS2_S5_S5_d21rocsparse_index_base_imNS_24const_host_device_scalarIfEENS7_IdEENS7_IS3_EEb
    .private_segment_fixed_size: 0
    .sgpr_count:     43
    .sgpr_spill_count: 0
    .symbol:         _ZN9rocsparseL12csrilu0_hashILj256ELj64ELj4EdEEviPKiS2_PT2_S2_PiS2_S5_S5_d21rocsparse_index_base_imNS_24const_host_device_scalarIfEENS7_IdEENS7_IS3_EEb.kd
    .uniform_work_group_size: 1
    .uses_dynamic_stack: false
    .vgpr_count:     30
    .vgpr_spill_count: 0
    .wavefront_size: 32
    .workgroup_processor_mode: 1
  - .args:
      - .offset:         0
        .size:           4
        .value_kind:     by_value
      - .address_space:  global
        .offset:         8
        .size:           8
        .value_kind:     global_buffer
      - .address_space:  global
        .offset:         16
        .size:           8
        .value_kind:     global_buffer
      - .address_space:  global
        .offset:         24
        .size:           8
        .value_kind:     global_buffer
      - .address_space:  global
        .offset:         32
        .size:           8
        .value_kind:     global_buffer
      - .address_space:  global
        .offset:         40
        .size:           8
        .value_kind:     global_buffer
      - .address_space:  global
        .offset:         48
        .size:           8
        .value_kind:     global_buffer
      - .address_space:  global
        .offset:         56
        .size:           8
        .value_kind:     global_buffer
      - .address_space:  global
        .offset:         64
        .size:           8
        .value_kind:     global_buffer
      - .offset:         72
        .size:           8
        .value_kind:     by_value
      - .offset:         80
        .size:           4
        .value_kind:     by_value
      - .offset:         84
        .size:           4
        .value_kind:     by_value
      - .offset:         88
        .size:           8
        .value_kind:     by_value
      - .offset:         96
        .size:           8
        .value_kind:     by_value
      - .offset:         104
        .size:           8
        .value_kind:     by_value
      - .offset:         112
        .size:           8
        .value_kind:     by_value
      - .offset:         120
        .size:           1
        .value_kind:     by_value
    .group_segment_fixed_size: 16384
    .kernarg_segment_align: 8
    .kernarg_segment_size: 124
    .language:       OpenCL C
    .language_version:
      - 2
      - 0
    .max_flat_workgroup_size: 256
    .name:           _ZN9rocsparseL12csrilu0_hashILj256ELj64ELj8EdEEviPKiS2_PT2_S2_PiS2_S5_S5_d21rocsparse_index_base_imNS_24const_host_device_scalarIfEENS7_IdEENS7_IS3_EEb
    .private_segment_fixed_size: 0
    .sgpr_count:     43
    .sgpr_spill_count: 0
    .symbol:         _ZN9rocsparseL12csrilu0_hashILj256ELj64ELj8EdEEviPKiS2_PT2_S2_PiS2_S5_S5_d21rocsparse_index_base_imNS_24const_host_device_scalarIfEENS7_IdEENS7_IS3_EEb.kd
    .uniform_work_group_size: 1
    .uses_dynamic_stack: false
    .vgpr_count:     30
    .vgpr_spill_count: 0
    .wavefront_size: 32
    .workgroup_processor_mode: 1
  - .args:
      - .offset:         0
        .size:           4
        .value_kind:     by_value
      - .address_space:  global
        .offset:         8
        .size:           8
        .value_kind:     global_buffer
      - .address_space:  global
        .offset:         16
        .size:           8
        .value_kind:     global_buffer
      - .address_space:  global
        .offset:         24
        .size:           8
        .value_kind:     global_buffer
      - .address_space:  global
        .offset:         32
        .size:           8
        .value_kind:     global_buffer
      - .address_space:  global
        .offset:         40
        .size:           8
        .value_kind:     global_buffer
      - .address_space:  global
        .offset:         48
        .size:           8
        .value_kind:     global_buffer
      - .address_space:  global
        .offset:         56
        .size:           8
        .value_kind:     global_buffer
      - .address_space:  global
        .offset:         64
        .size:           8
        .value_kind:     global_buffer
      - .offset:         72
        .size:           8
        .value_kind:     by_value
      - .offset:         80
        .size:           4
        .value_kind:     by_value
      - .offset:         84
        .size:           4
        .value_kind:     by_value
      - .offset:         88
        .size:           8
        .value_kind:     by_value
      - .offset:         96
        .size:           8
        .value_kind:     by_value
      - .offset:         104
        .size:           8
        .value_kind:     by_value
      - .offset:         112
        .size:           8
        .value_kind:     by_value
      - .offset:         120
        .size:           1
        .value_kind:     by_value
    .group_segment_fixed_size: 32768
    .kernarg_segment_align: 8
    .kernarg_segment_size: 124
    .language:       OpenCL C
    .language_version:
      - 2
      - 0
    .max_flat_workgroup_size: 256
    .name:           _ZN9rocsparseL12csrilu0_hashILj256ELj64ELj16EdEEviPKiS2_PT2_S2_PiS2_S5_S5_d21rocsparse_index_base_imNS_24const_host_device_scalarIfEENS7_IdEENS7_IS3_EEb
    .private_segment_fixed_size: 0
    .sgpr_count:     43
    .sgpr_spill_count: 0
    .symbol:         _ZN9rocsparseL12csrilu0_hashILj256ELj64ELj16EdEEviPKiS2_PT2_S2_PiS2_S5_S5_d21rocsparse_index_base_imNS_24const_host_device_scalarIfEENS7_IdEENS7_IS3_EEb.kd
    .uniform_work_group_size: 1
    .uses_dynamic_stack: false
    .vgpr_count:     30
    .vgpr_spill_count: 0
    .wavefront_size: 32
    .workgroup_processor_mode: 1
  - .args:
      - .offset:         0
        .size:           4
        .value_kind:     by_value
      - .address_space:  global
        .offset:         8
        .size:           8
        .value_kind:     global_buffer
      - .address_space:  global
        .offset:         16
        .size:           8
        .value_kind:     global_buffer
      - .address_space:  global
        .offset:         24
        .size:           8
        .value_kind:     global_buffer
      - .address_space:  global
        .offset:         32
        .size:           8
        .value_kind:     global_buffer
      - .address_space:  global
        .offset:         40
        .size:           8
        .value_kind:     global_buffer
      - .address_space:  global
        .offset:         48
        .size:           8
        .value_kind:     global_buffer
      - .address_space:  global
        .offset:         56
        .size:           8
        .value_kind:     global_buffer
      - .address_space:  global
        .offset:         64
        .size:           8
        .value_kind:     global_buffer
      - .offset:         72
        .size:           8
        .value_kind:     by_value
      - .offset:         80
        .size:           4
        .value_kind:     by_value
      - .offset:         84
        .size:           4
        .value_kind:     by_value
      - .offset:         88
        .size:           8
        .value_kind:     by_value
      - .offset:         96
        .size:           8
        .value_kind:     by_value
      - .offset:         104
        .size:           8
        .value_kind:     by_value
      - .offset:         112
        .size:           8
        .value_kind:     by_value
      - .offset:         120
        .size:           1
        .value_kind:     by_value
    .group_segment_fixed_size: 0
    .kernarg_segment_align: 8
    .kernarg_segment_size: 124
    .language:       OpenCL C
    .language_version:
      - 2
      - 0
    .max_flat_workgroup_size: 256
    .name:           _ZN9rocsparseL17csrilu0_binsearchILj256ELj64ELb0EdEEviPKiS2_PT2_S2_PiS2_S5_S5_d21rocsparse_index_base_imNS_24const_host_device_scalarIfEENS7_IdEENS7_IS3_EEb
    .private_segment_fixed_size: 0
    .sgpr_count:     33
    .sgpr_spill_count: 0
    .symbol:         _ZN9rocsparseL17csrilu0_binsearchILj256ELj64ELb0EdEEviPKiS2_PT2_S2_PiS2_S5_S5_d21rocsparse_index_base_imNS_24const_host_device_scalarIfEENS7_IdEENS7_IS3_EEb.kd
    .uniform_work_group_size: 1
    .uses_dynamic_stack: false
    .vgpr_count:     29
    .vgpr_spill_count: 0
    .wavefront_size: 32
    .workgroup_processor_mode: 1
  - .args:
      - .offset:         0
        .size:           4
        .value_kind:     by_value
      - .address_space:  global
        .offset:         8
        .size:           8
        .value_kind:     global_buffer
      - .address_space:  global
        .offset:         16
        .size:           8
        .value_kind:     global_buffer
      - .address_space:  global
        .offset:         24
        .size:           8
        .value_kind:     global_buffer
      - .address_space:  global
        .offset:         32
        .size:           8
        .value_kind:     global_buffer
      - .address_space:  global
        .offset:         40
        .size:           8
        .value_kind:     global_buffer
      - .address_space:  global
        .offset:         48
        .size:           8
        .value_kind:     global_buffer
      - .address_space:  global
        .offset:         56
        .size:           8
        .value_kind:     global_buffer
      - .address_space:  global
        .offset:         64
        .size:           8
        .value_kind:     global_buffer
      - .offset:         72
        .size:           8
        .value_kind:     by_value
      - .offset:         80
        .size:           4
        .value_kind:     by_value
      - .offset:         84
        .size:           4
        .value_kind:     by_value
      - .offset:         88
        .size:           8
        .value_kind:     by_value
      - .offset:         96
        .size:           8
        .value_kind:     by_value
      - .offset:         104
        .size:           8
        .value_kind:     by_value
      - .offset:         112
        .size:           8
        .value_kind:     by_value
      - .offset:         120
        .size:           1
        .value_kind:     by_value
    .group_segment_fixed_size: 0
    .kernarg_segment_align: 8
    .kernarg_segment_size: 124
    .language:       OpenCL C
    .language_version:
      - 2
      - 0
    .max_flat_workgroup_size: 256
    .name:           _ZN9rocsparseL17csrilu0_binsearchILj256ELj64ELb1E21rocsparse_complex_numIfEEEviPKiS4_PT2_S4_PiS4_S7_S7_d21rocsparse_index_base_imNS_24const_host_device_scalarIfEENS9_IdEENS9_IS5_EEb
    .private_segment_fixed_size: 0
    .sgpr_count:     32
    .sgpr_spill_count: 0
    .symbol:         _ZN9rocsparseL17csrilu0_binsearchILj256ELj64ELb1E21rocsparse_complex_numIfEEEviPKiS4_PT2_S4_PiS4_S7_S7_d21rocsparse_index_base_imNS_24const_host_device_scalarIfEENS9_IdEENS9_IS5_EEb.kd
    .uniform_work_group_size: 1
    .uses_dynamic_stack: false
    .vgpr_count:     25
    .vgpr_spill_count: 0
    .wavefront_size: 32
    .workgroup_processor_mode: 1
  - .args:
      - .offset:         0
        .size:           4
        .value_kind:     by_value
      - .address_space:  global
        .offset:         8
        .size:           8
        .value_kind:     global_buffer
      - .address_space:  global
        .offset:         16
        .size:           8
        .value_kind:     global_buffer
      - .address_space:  global
        .offset:         24
        .size:           8
        .value_kind:     global_buffer
      - .address_space:  global
        .offset:         32
        .size:           8
        .value_kind:     global_buffer
      - .address_space:  global
        .offset:         40
        .size:           8
        .value_kind:     global_buffer
      - .address_space:  global
        .offset:         48
        .size:           8
        .value_kind:     global_buffer
      - .address_space:  global
        .offset:         56
        .size:           8
        .value_kind:     global_buffer
      - .address_space:  global
        .offset:         64
        .size:           8
        .value_kind:     global_buffer
      - .offset:         72
        .size:           8
        .value_kind:     by_value
      - .offset:         80
        .size:           4
        .value_kind:     by_value
      - .offset:         84
        .size:           4
        .value_kind:     by_value
      - .offset:         88
        .size:           8
        .value_kind:     by_value
      - .offset:         96
        .size:           8
        .value_kind:     by_value
      - .offset:         104
        .size:           8
        .value_kind:     by_value
      - .offset:         112
        .size:           8
        .value_kind:     by_value
      - .offset:         120
        .size:           1
        .value_kind:     by_value
    .group_segment_fixed_size: 2048
    .kernarg_segment_align: 8
    .kernarg_segment_size: 124
    .language:       OpenCL C
    .language_version:
      - 2
      - 0
    .max_flat_workgroup_size: 256
    .name:           _ZN9rocsparseL12csrilu0_hashILj256ELj32ELj1E21rocsparse_complex_numIfEEEviPKiS4_PT2_S4_PiS4_S7_S7_d21rocsparse_index_base_imNS_24const_host_device_scalarIfEENS9_IdEENS9_IS5_EEb
    .private_segment_fixed_size: 0
    .sgpr_count:     44
    .sgpr_spill_count: 0
    .symbol:         _ZN9rocsparseL12csrilu0_hashILj256ELj32ELj1E21rocsparse_complex_numIfEEEviPKiS4_PT2_S4_PiS4_S7_S7_d21rocsparse_index_base_imNS_24const_host_device_scalarIfEENS9_IdEENS9_IS5_EEb.kd
    .uniform_work_group_size: 1
    .uses_dynamic_stack: false
    .vgpr_count:     26
    .vgpr_spill_count: 0
    .wavefront_size: 32
    .workgroup_processor_mode: 1
  - .args:
      - .offset:         0
        .size:           4
        .value_kind:     by_value
      - .address_space:  global
        .offset:         8
        .size:           8
        .value_kind:     global_buffer
      - .address_space:  global
        .offset:         16
        .size:           8
        .value_kind:     global_buffer
      - .address_space:  global
        .offset:         24
        .size:           8
        .value_kind:     global_buffer
      - .address_space:  global
        .offset:         32
        .size:           8
        .value_kind:     global_buffer
      - .address_space:  global
        .offset:         40
        .size:           8
        .value_kind:     global_buffer
      - .address_space:  global
        .offset:         48
        .size:           8
        .value_kind:     global_buffer
      - .address_space:  global
        .offset:         56
        .size:           8
        .value_kind:     global_buffer
      - .address_space:  global
        .offset:         64
        .size:           8
        .value_kind:     global_buffer
      - .offset:         72
        .size:           8
        .value_kind:     by_value
      - .offset:         80
        .size:           4
        .value_kind:     by_value
      - .offset:         84
        .size:           4
        .value_kind:     by_value
      - .offset:         88
        .size:           8
        .value_kind:     by_value
      - .offset:         96
        .size:           8
        .value_kind:     by_value
      - .offset:         104
        .size:           8
        .value_kind:     by_value
      - .offset:         112
        .size:           8
        .value_kind:     by_value
      - .offset:         120
        .size:           1
        .value_kind:     by_value
    .group_segment_fixed_size: 4096
    .kernarg_segment_align: 8
    .kernarg_segment_size: 124
    .language:       OpenCL C
    .language_version:
      - 2
      - 0
    .max_flat_workgroup_size: 256
    .name:           _ZN9rocsparseL12csrilu0_hashILj256ELj32ELj2E21rocsparse_complex_numIfEEEviPKiS4_PT2_S4_PiS4_S7_S7_d21rocsparse_index_base_imNS_24const_host_device_scalarIfEENS9_IdEENS9_IS5_EEb
    .private_segment_fixed_size: 0
    .sgpr_count:     44
    .sgpr_spill_count: 0
    .symbol:         _ZN9rocsparseL12csrilu0_hashILj256ELj32ELj2E21rocsparse_complex_numIfEEEviPKiS4_PT2_S4_PiS4_S7_S7_d21rocsparse_index_base_imNS_24const_host_device_scalarIfEENS9_IdEENS9_IS5_EEb.kd
    .uniform_work_group_size: 1
    .uses_dynamic_stack: false
    .vgpr_count:     26
    .vgpr_spill_count: 0
    .wavefront_size: 32
    .workgroup_processor_mode: 1
  - .args:
      - .offset:         0
        .size:           4
        .value_kind:     by_value
      - .address_space:  global
        .offset:         8
        .size:           8
        .value_kind:     global_buffer
      - .address_space:  global
        .offset:         16
        .size:           8
        .value_kind:     global_buffer
      - .address_space:  global
        .offset:         24
        .size:           8
        .value_kind:     global_buffer
      - .address_space:  global
        .offset:         32
        .size:           8
        .value_kind:     global_buffer
      - .address_space:  global
        .offset:         40
        .size:           8
        .value_kind:     global_buffer
      - .address_space:  global
        .offset:         48
        .size:           8
        .value_kind:     global_buffer
      - .address_space:  global
        .offset:         56
        .size:           8
        .value_kind:     global_buffer
      - .address_space:  global
        .offset:         64
        .size:           8
        .value_kind:     global_buffer
      - .offset:         72
        .size:           8
        .value_kind:     by_value
      - .offset:         80
        .size:           4
        .value_kind:     by_value
      - .offset:         84
        .size:           4
        .value_kind:     by_value
      - .offset:         88
        .size:           8
        .value_kind:     by_value
      - .offset:         96
        .size:           8
        .value_kind:     by_value
      - .offset:         104
        .size:           8
        .value_kind:     by_value
      - .offset:         112
        .size:           8
        .value_kind:     by_value
      - .offset:         120
        .size:           1
        .value_kind:     by_value
    .group_segment_fixed_size: 8192
    .kernarg_segment_align: 8
    .kernarg_segment_size: 124
    .language:       OpenCL C
    .language_version:
      - 2
      - 0
    .max_flat_workgroup_size: 256
    .name:           _ZN9rocsparseL12csrilu0_hashILj256ELj32ELj4E21rocsparse_complex_numIfEEEviPKiS4_PT2_S4_PiS4_S7_S7_d21rocsparse_index_base_imNS_24const_host_device_scalarIfEENS9_IdEENS9_IS5_EEb
    .private_segment_fixed_size: 0
    .sgpr_count:     44
    .sgpr_spill_count: 0
    .symbol:         _ZN9rocsparseL12csrilu0_hashILj256ELj32ELj4E21rocsparse_complex_numIfEEEviPKiS4_PT2_S4_PiS4_S7_S7_d21rocsparse_index_base_imNS_24const_host_device_scalarIfEENS9_IdEENS9_IS5_EEb.kd
    .uniform_work_group_size: 1
    .uses_dynamic_stack: false
    .vgpr_count:     26
    .vgpr_spill_count: 0
    .wavefront_size: 32
    .workgroup_processor_mode: 1
  - .args:
      - .offset:         0
        .size:           4
        .value_kind:     by_value
      - .address_space:  global
        .offset:         8
        .size:           8
        .value_kind:     global_buffer
      - .address_space:  global
        .offset:         16
        .size:           8
        .value_kind:     global_buffer
      - .address_space:  global
        .offset:         24
        .size:           8
        .value_kind:     global_buffer
      - .address_space:  global
        .offset:         32
        .size:           8
        .value_kind:     global_buffer
      - .address_space:  global
        .offset:         40
        .size:           8
        .value_kind:     global_buffer
      - .address_space:  global
        .offset:         48
        .size:           8
        .value_kind:     global_buffer
      - .address_space:  global
        .offset:         56
        .size:           8
        .value_kind:     global_buffer
      - .address_space:  global
        .offset:         64
        .size:           8
        .value_kind:     global_buffer
      - .offset:         72
        .size:           8
        .value_kind:     by_value
      - .offset:         80
        .size:           4
        .value_kind:     by_value
      - .offset:         84
        .size:           4
        .value_kind:     by_value
      - .offset:         88
        .size:           8
        .value_kind:     by_value
      - .offset:         96
        .size:           8
        .value_kind:     by_value
      - .offset:         104
        .size:           8
        .value_kind:     by_value
      - .offset:         112
        .size:           8
        .value_kind:     by_value
      - .offset:         120
        .size:           1
        .value_kind:     by_value
    .group_segment_fixed_size: 16384
    .kernarg_segment_align: 8
    .kernarg_segment_size: 124
    .language:       OpenCL C
    .language_version:
      - 2
      - 0
    .max_flat_workgroup_size: 256
    .name:           _ZN9rocsparseL12csrilu0_hashILj256ELj32ELj8E21rocsparse_complex_numIfEEEviPKiS4_PT2_S4_PiS4_S7_S7_d21rocsparse_index_base_imNS_24const_host_device_scalarIfEENS9_IdEENS9_IS5_EEb
    .private_segment_fixed_size: 0
    .sgpr_count:     44
    .sgpr_spill_count: 0
    .symbol:         _ZN9rocsparseL12csrilu0_hashILj256ELj32ELj8E21rocsparse_complex_numIfEEEviPKiS4_PT2_S4_PiS4_S7_S7_d21rocsparse_index_base_imNS_24const_host_device_scalarIfEENS9_IdEENS9_IS5_EEb.kd
    .uniform_work_group_size: 1
    .uses_dynamic_stack: false
    .vgpr_count:     26
    .vgpr_spill_count: 0
    .wavefront_size: 32
    .workgroup_processor_mode: 1
  - .args:
      - .offset:         0
        .size:           4
        .value_kind:     by_value
      - .address_space:  global
        .offset:         8
        .size:           8
        .value_kind:     global_buffer
      - .address_space:  global
        .offset:         16
        .size:           8
        .value_kind:     global_buffer
      - .address_space:  global
        .offset:         24
        .size:           8
        .value_kind:     global_buffer
      - .address_space:  global
        .offset:         32
        .size:           8
        .value_kind:     global_buffer
      - .address_space:  global
        .offset:         40
        .size:           8
        .value_kind:     global_buffer
      - .address_space:  global
        .offset:         48
        .size:           8
        .value_kind:     global_buffer
      - .address_space:  global
        .offset:         56
        .size:           8
        .value_kind:     global_buffer
      - .address_space:  global
        .offset:         64
        .size:           8
        .value_kind:     global_buffer
      - .offset:         72
        .size:           8
        .value_kind:     by_value
      - .offset:         80
        .size:           4
        .value_kind:     by_value
      - .offset:         84
        .size:           4
        .value_kind:     by_value
      - .offset:         88
        .size:           8
        .value_kind:     by_value
      - .offset:         96
        .size:           8
        .value_kind:     by_value
      - .offset:         104
        .size:           8
        .value_kind:     by_value
      - .offset:         112
        .size:           8
        .value_kind:     by_value
      - .offset:         120
        .size:           1
        .value_kind:     by_value
    .group_segment_fixed_size: 32768
    .kernarg_segment_align: 8
    .kernarg_segment_size: 124
    .language:       OpenCL C
    .language_version:
      - 2
      - 0
    .max_flat_workgroup_size: 256
    .name:           _ZN9rocsparseL12csrilu0_hashILj256ELj32ELj16E21rocsparse_complex_numIfEEEviPKiS4_PT2_S4_PiS4_S7_S7_d21rocsparse_index_base_imNS_24const_host_device_scalarIfEENS9_IdEENS9_IS5_EEb
    .private_segment_fixed_size: 0
    .sgpr_count:     44
    .sgpr_spill_count: 0
    .symbol:         _ZN9rocsparseL12csrilu0_hashILj256ELj32ELj16E21rocsparse_complex_numIfEEEviPKiS4_PT2_S4_PiS4_S7_S7_d21rocsparse_index_base_imNS_24const_host_device_scalarIfEENS9_IdEENS9_IS5_EEb.kd
    .uniform_work_group_size: 1
    .uses_dynamic_stack: false
    .vgpr_count:     26
    .vgpr_spill_count: 0
    .wavefront_size: 32
    .workgroup_processor_mode: 1
  - .args:
      - .offset:         0
        .size:           4
        .value_kind:     by_value
      - .address_space:  global
        .offset:         8
        .size:           8
        .value_kind:     global_buffer
      - .address_space:  global
        .offset:         16
        .size:           8
        .value_kind:     global_buffer
      - .address_space:  global
        .offset:         24
        .size:           8
        .value_kind:     global_buffer
      - .address_space:  global
        .offset:         32
        .size:           8
        .value_kind:     global_buffer
      - .address_space:  global
        .offset:         40
        .size:           8
        .value_kind:     global_buffer
      - .address_space:  global
        .offset:         48
        .size:           8
        .value_kind:     global_buffer
      - .address_space:  global
        .offset:         56
        .size:           8
        .value_kind:     global_buffer
      - .address_space:  global
        .offset:         64
        .size:           8
        .value_kind:     global_buffer
      - .offset:         72
        .size:           8
        .value_kind:     by_value
      - .offset:         80
        .size:           4
        .value_kind:     by_value
      - .offset:         84
        .size:           4
        .value_kind:     by_value
      - .offset:         88
        .size:           8
        .value_kind:     by_value
      - .offset:         96
        .size:           8
        .value_kind:     by_value
      - .offset:         104
        .size:           8
        .value_kind:     by_value
      - .offset:         112
        .size:           8
        .value_kind:     by_value
      - .offset:         120
        .size:           1
        .value_kind:     by_value
    .group_segment_fixed_size: 0
    .kernarg_segment_align: 8
    .kernarg_segment_size: 124
    .language:       OpenCL C
    .language_version:
      - 2
      - 0
    .max_flat_workgroup_size: 256
    .name:           _ZN9rocsparseL17csrilu0_binsearchILj256ELj32ELb0E21rocsparse_complex_numIfEEEviPKiS4_PT2_S4_PiS4_S7_S7_d21rocsparse_index_base_imNS_24const_host_device_scalarIfEENS9_IdEENS9_IS5_EEb
    .private_segment_fixed_size: 0
    .sgpr_count:     32
    .sgpr_spill_count: 0
    .symbol:         _ZN9rocsparseL17csrilu0_binsearchILj256ELj32ELb0E21rocsparse_complex_numIfEEEviPKiS4_PT2_S4_PiS4_S7_S7_d21rocsparse_index_base_imNS_24const_host_device_scalarIfEENS9_IdEENS9_IS5_EEb.kd
    .uniform_work_group_size: 1
    .uses_dynamic_stack: false
    .vgpr_count:     25
    .vgpr_spill_count: 0
    .wavefront_size: 32
    .workgroup_processor_mode: 1
  - .args:
      - .offset:         0
        .size:           4
        .value_kind:     by_value
      - .address_space:  global
        .offset:         8
        .size:           8
        .value_kind:     global_buffer
      - .address_space:  global
        .offset:         16
        .size:           8
        .value_kind:     global_buffer
      - .address_space:  global
        .offset:         24
        .size:           8
        .value_kind:     global_buffer
      - .address_space:  global
        .offset:         32
        .size:           8
        .value_kind:     global_buffer
      - .address_space:  global
        .offset:         40
        .size:           8
        .value_kind:     global_buffer
      - .address_space:  global
        .offset:         48
        .size:           8
        .value_kind:     global_buffer
      - .address_space:  global
        .offset:         56
        .size:           8
        .value_kind:     global_buffer
      - .address_space:  global
        .offset:         64
        .size:           8
        .value_kind:     global_buffer
      - .offset:         72
        .size:           8
        .value_kind:     by_value
      - .offset:         80
        .size:           4
        .value_kind:     by_value
      - .offset:         84
        .size:           4
        .value_kind:     by_value
      - .offset:         88
        .size:           8
        .value_kind:     by_value
      - .offset:         96
        .size:           8
        .value_kind:     by_value
      - .offset:         104
        .size:           8
        .value_kind:     by_value
      - .offset:         112
        .size:           8
        .value_kind:     by_value
      - .offset:         120
        .size:           1
        .value_kind:     by_value
    .group_segment_fixed_size: 2048
    .kernarg_segment_align: 8
    .kernarg_segment_size: 124
    .language:       OpenCL C
    .language_version:
      - 2
      - 0
    .max_flat_workgroup_size: 256
    .name:           _ZN9rocsparseL12csrilu0_hashILj256ELj64ELj1E21rocsparse_complex_numIfEEEviPKiS4_PT2_S4_PiS4_S7_S7_d21rocsparse_index_base_imNS_24const_host_device_scalarIfEENS9_IdEENS9_IS5_EEb
    .private_segment_fixed_size: 0
    .sgpr_count:     44
    .sgpr_spill_count: 0
    .symbol:         _ZN9rocsparseL12csrilu0_hashILj256ELj64ELj1E21rocsparse_complex_numIfEEEviPKiS4_PT2_S4_PiS4_S7_S7_d21rocsparse_index_base_imNS_24const_host_device_scalarIfEENS9_IdEENS9_IS5_EEb.kd
    .uniform_work_group_size: 1
    .uses_dynamic_stack: false
    .vgpr_count:     26
    .vgpr_spill_count: 0
    .wavefront_size: 32
    .workgroup_processor_mode: 1
  - .args:
      - .offset:         0
        .size:           4
        .value_kind:     by_value
      - .address_space:  global
        .offset:         8
        .size:           8
        .value_kind:     global_buffer
      - .address_space:  global
        .offset:         16
        .size:           8
        .value_kind:     global_buffer
      - .address_space:  global
        .offset:         24
        .size:           8
        .value_kind:     global_buffer
      - .address_space:  global
        .offset:         32
        .size:           8
        .value_kind:     global_buffer
      - .address_space:  global
        .offset:         40
        .size:           8
        .value_kind:     global_buffer
      - .address_space:  global
        .offset:         48
        .size:           8
        .value_kind:     global_buffer
      - .address_space:  global
        .offset:         56
        .size:           8
        .value_kind:     global_buffer
      - .address_space:  global
        .offset:         64
        .size:           8
        .value_kind:     global_buffer
      - .offset:         72
        .size:           8
        .value_kind:     by_value
      - .offset:         80
        .size:           4
        .value_kind:     by_value
      - .offset:         84
        .size:           4
        .value_kind:     by_value
      - .offset:         88
        .size:           8
        .value_kind:     by_value
      - .offset:         96
        .size:           8
        .value_kind:     by_value
      - .offset:         104
        .size:           8
        .value_kind:     by_value
      - .offset:         112
        .size:           8
        .value_kind:     by_value
      - .offset:         120
        .size:           1
        .value_kind:     by_value
    .group_segment_fixed_size: 4096
    .kernarg_segment_align: 8
    .kernarg_segment_size: 124
    .language:       OpenCL C
    .language_version:
      - 2
      - 0
    .max_flat_workgroup_size: 256
    .name:           _ZN9rocsparseL12csrilu0_hashILj256ELj64ELj2E21rocsparse_complex_numIfEEEviPKiS4_PT2_S4_PiS4_S7_S7_d21rocsparse_index_base_imNS_24const_host_device_scalarIfEENS9_IdEENS9_IS5_EEb
    .private_segment_fixed_size: 0
    .sgpr_count:     44
    .sgpr_spill_count: 0
    .symbol:         _ZN9rocsparseL12csrilu0_hashILj256ELj64ELj2E21rocsparse_complex_numIfEEEviPKiS4_PT2_S4_PiS4_S7_S7_d21rocsparse_index_base_imNS_24const_host_device_scalarIfEENS9_IdEENS9_IS5_EEb.kd
    .uniform_work_group_size: 1
    .uses_dynamic_stack: false
    .vgpr_count:     26
    .vgpr_spill_count: 0
    .wavefront_size: 32
    .workgroup_processor_mode: 1
  - .args:
      - .offset:         0
        .size:           4
        .value_kind:     by_value
      - .address_space:  global
        .offset:         8
        .size:           8
        .value_kind:     global_buffer
      - .address_space:  global
        .offset:         16
        .size:           8
        .value_kind:     global_buffer
      - .address_space:  global
        .offset:         24
        .size:           8
        .value_kind:     global_buffer
      - .address_space:  global
        .offset:         32
        .size:           8
        .value_kind:     global_buffer
      - .address_space:  global
        .offset:         40
        .size:           8
        .value_kind:     global_buffer
      - .address_space:  global
        .offset:         48
        .size:           8
        .value_kind:     global_buffer
      - .address_space:  global
        .offset:         56
        .size:           8
        .value_kind:     global_buffer
      - .address_space:  global
        .offset:         64
        .size:           8
        .value_kind:     global_buffer
      - .offset:         72
        .size:           8
        .value_kind:     by_value
      - .offset:         80
        .size:           4
        .value_kind:     by_value
      - .offset:         84
        .size:           4
        .value_kind:     by_value
      - .offset:         88
        .size:           8
        .value_kind:     by_value
      - .offset:         96
        .size:           8
        .value_kind:     by_value
      - .offset:         104
        .size:           8
        .value_kind:     by_value
      - .offset:         112
        .size:           8
        .value_kind:     by_value
      - .offset:         120
        .size:           1
        .value_kind:     by_value
    .group_segment_fixed_size: 8192
    .kernarg_segment_align: 8
    .kernarg_segment_size: 124
    .language:       OpenCL C
    .language_version:
      - 2
      - 0
    .max_flat_workgroup_size: 256
    .name:           _ZN9rocsparseL12csrilu0_hashILj256ELj64ELj4E21rocsparse_complex_numIfEEEviPKiS4_PT2_S4_PiS4_S7_S7_d21rocsparse_index_base_imNS_24const_host_device_scalarIfEENS9_IdEENS9_IS5_EEb
    .private_segment_fixed_size: 0
    .sgpr_count:     44
    .sgpr_spill_count: 0
    .symbol:         _ZN9rocsparseL12csrilu0_hashILj256ELj64ELj4E21rocsparse_complex_numIfEEEviPKiS4_PT2_S4_PiS4_S7_S7_d21rocsparse_index_base_imNS_24const_host_device_scalarIfEENS9_IdEENS9_IS5_EEb.kd
    .uniform_work_group_size: 1
    .uses_dynamic_stack: false
    .vgpr_count:     26
    .vgpr_spill_count: 0
    .wavefront_size: 32
    .workgroup_processor_mode: 1
  - .args:
      - .offset:         0
        .size:           4
        .value_kind:     by_value
      - .address_space:  global
        .offset:         8
        .size:           8
        .value_kind:     global_buffer
      - .address_space:  global
        .offset:         16
        .size:           8
        .value_kind:     global_buffer
      - .address_space:  global
        .offset:         24
        .size:           8
        .value_kind:     global_buffer
      - .address_space:  global
        .offset:         32
        .size:           8
        .value_kind:     global_buffer
      - .address_space:  global
        .offset:         40
        .size:           8
        .value_kind:     global_buffer
      - .address_space:  global
        .offset:         48
        .size:           8
        .value_kind:     global_buffer
      - .address_space:  global
        .offset:         56
        .size:           8
        .value_kind:     global_buffer
      - .address_space:  global
        .offset:         64
        .size:           8
        .value_kind:     global_buffer
      - .offset:         72
        .size:           8
        .value_kind:     by_value
      - .offset:         80
        .size:           4
        .value_kind:     by_value
      - .offset:         84
        .size:           4
        .value_kind:     by_value
      - .offset:         88
        .size:           8
        .value_kind:     by_value
      - .offset:         96
        .size:           8
        .value_kind:     by_value
      - .offset:         104
        .size:           8
        .value_kind:     by_value
      - .offset:         112
        .size:           8
        .value_kind:     by_value
      - .offset:         120
        .size:           1
        .value_kind:     by_value
    .group_segment_fixed_size: 16384
    .kernarg_segment_align: 8
    .kernarg_segment_size: 124
    .language:       OpenCL C
    .language_version:
      - 2
      - 0
    .max_flat_workgroup_size: 256
    .name:           _ZN9rocsparseL12csrilu0_hashILj256ELj64ELj8E21rocsparse_complex_numIfEEEviPKiS4_PT2_S4_PiS4_S7_S7_d21rocsparse_index_base_imNS_24const_host_device_scalarIfEENS9_IdEENS9_IS5_EEb
    .private_segment_fixed_size: 0
    .sgpr_count:     44
    .sgpr_spill_count: 0
    .symbol:         _ZN9rocsparseL12csrilu0_hashILj256ELj64ELj8E21rocsparse_complex_numIfEEEviPKiS4_PT2_S4_PiS4_S7_S7_d21rocsparse_index_base_imNS_24const_host_device_scalarIfEENS9_IdEENS9_IS5_EEb.kd
    .uniform_work_group_size: 1
    .uses_dynamic_stack: false
    .vgpr_count:     26
    .vgpr_spill_count: 0
    .wavefront_size: 32
    .workgroup_processor_mode: 1
  - .args:
      - .offset:         0
        .size:           4
        .value_kind:     by_value
      - .address_space:  global
        .offset:         8
        .size:           8
        .value_kind:     global_buffer
      - .address_space:  global
        .offset:         16
        .size:           8
        .value_kind:     global_buffer
      - .address_space:  global
        .offset:         24
        .size:           8
        .value_kind:     global_buffer
      - .address_space:  global
        .offset:         32
        .size:           8
        .value_kind:     global_buffer
      - .address_space:  global
        .offset:         40
        .size:           8
        .value_kind:     global_buffer
      - .address_space:  global
        .offset:         48
        .size:           8
        .value_kind:     global_buffer
      - .address_space:  global
        .offset:         56
        .size:           8
        .value_kind:     global_buffer
      - .address_space:  global
        .offset:         64
        .size:           8
        .value_kind:     global_buffer
      - .offset:         72
        .size:           8
        .value_kind:     by_value
      - .offset:         80
        .size:           4
        .value_kind:     by_value
      - .offset:         84
        .size:           4
        .value_kind:     by_value
      - .offset:         88
        .size:           8
        .value_kind:     by_value
      - .offset:         96
        .size:           8
        .value_kind:     by_value
      - .offset:         104
        .size:           8
        .value_kind:     by_value
      - .offset:         112
        .size:           8
        .value_kind:     by_value
      - .offset:         120
        .size:           1
        .value_kind:     by_value
    .group_segment_fixed_size: 32768
    .kernarg_segment_align: 8
    .kernarg_segment_size: 124
    .language:       OpenCL C
    .language_version:
      - 2
      - 0
    .max_flat_workgroup_size: 256
    .name:           _ZN9rocsparseL12csrilu0_hashILj256ELj64ELj16E21rocsparse_complex_numIfEEEviPKiS4_PT2_S4_PiS4_S7_S7_d21rocsparse_index_base_imNS_24const_host_device_scalarIfEENS9_IdEENS9_IS5_EEb
    .private_segment_fixed_size: 0
    .sgpr_count:     44
    .sgpr_spill_count: 0
    .symbol:         _ZN9rocsparseL12csrilu0_hashILj256ELj64ELj16E21rocsparse_complex_numIfEEEviPKiS4_PT2_S4_PiS4_S7_S7_d21rocsparse_index_base_imNS_24const_host_device_scalarIfEENS9_IdEENS9_IS5_EEb.kd
    .uniform_work_group_size: 1
    .uses_dynamic_stack: false
    .vgpr_count:     26
    .vgpr_spill_count: 0
    .wavefront_size: 32
    .workgroup_processor_mode: 1
  - .args:
      - .offset:         0
        .size:           4
        .value_kind:     by_value
      - .address_space:  global
        .offset:         8
        .size:           8
        .value_kind:     global_buffer
      - .address_space:  global
        .offset:         16
        .size:           8
        .value_kind:     global_buffer
      - .address_space:  global
        .offset:         24
        .size:           8
        .value_kind:     global_buffer
      - .address_space:  global
        .offset:         32
        .size:           8
        .value_kind:     global_buffer
      - .address_space:  global
        .offset:         40
        .size:           8
        .value_kind:     global_buffer
      - .address_space:  global
        .offset:         48
        .size:           8
        .value_kind:     global_buffer
      - .address_space:  global
        .offset:         56
        .size:           8
        .value_kind:     global_buffer
      - .address_space:  global
        .offset:         64
        .size:           8
        .value_kind:     global_buffer
      - .offset:         72
        .size:           8
        .value_kind:     by_value
      - .offset:         80
        .size:           4
        .value_kind:     by_value
      - .offset:         84
        .size:           4
        .value_kind:     by_value
      - .offset:         88
        .size:           8
        .value_kind:     by_value
      - .offset:         96
        .size:           8
        .value_kind:     by_value
      - .offset:         104
        .size:           8
        .value_kind:     by_value
      - .offset:         112
        .size:           8
        .value_kind:     by_value
      - .offset:         120
        .size:           1
        .value_kind:     by_value
    .group_segment_fixed_size: 0
    .kernarg_segment_align: 8
    .kernarg_segment_size: 124
    .language:       OpenCL C
    .language_version:
      - 2
      - 0
    .max_flat_workgroup_size: 256
    .name:           _ZN9rocsparseL17csrilu0_binsearchILj256ELj64ELb0E21rocsparse_complex_numIfEEEviPKiS4_PT2_S4_PiS4_S7_S7_d21rocsparse_index_base_imNS_24const_host_device_scalarIfEENS9_IdEENS9_IS5_EEb
    .private_segment_fixed_size: 0
    .sgpr_count:     32
    .sgpr_spill_count: 0
    .symbol:         _ZN9rocsparseL17csrilu0_binsearchILj256ELj64ELb0E21rocsparse_complex_numIfEEEviPKiS4_PT2_S4_PiS4_S7_S7_d21rocsparse_index_base_imNS_24const_host_device_scalarIfEENS9_IdEENS9_IS5_EEb.kd
    .uniform_work_group_size: 1
    .uses_dynamic_stack: false
    .vgpr_count:     25
    .vgpr_spill_count: 0
    .wavefront_size: 32
    .workgroup_processor_mode: 1
  - .args:
      - .offset:         0
        .size:           4
        .value_kind:     by_value
      - .address_space:  global
        .offset:         8
        .size:           8
        .value_kind:     global_buffer
      - .address_space:  global
        .offset:         16
        .size:           8
        .value_kind:     global_buffer
      - .address_space:  global
        .offset:         24
        .size:           8
        .value_kind:     global_buffer
      - .address_space:  global
        .offset:         32
        .size:           8
        .value_kind:     global_buffer
      - .address_space:  global
        .offset:         40
        .size:           8
        .value_kind:     global_buffer
      - .address_space:  global
        .offset:         48
        .size:           8
        .value_kind:     global_buffer
      - .address_space:  global
        .offset:         56
        .size:           8
        .value_kind:     global_buffer
      - .address_space:  global
        .offset:         64
        .size:           8
        .value_kind:     global_buffer
      - .offset:         72
        .size:           8
        .value_kind:     by_value
      - .offset:         80
        .size:           4
        .value_kind:     by_value
      - .offset:         84
        .size:           4
        .value_kind:     by_value
      - .offset:         88
        .size:           8
        .value_kind:     by_value
      - .offset:         96
        .size:           8
        .value_kind:     by_value
      - .offset:         104
        .size:           8
        .value_kind:     by_value
      - .offset:         112
        .size:           16
        .value_kind:     by_value
      - .offset:         128
        .size:           1
        .value_kind:     by_value
    .group_segment_fixed_size: 0
    .kernarg_segment_align: 8
    .kernarg_segment_size: 132
    .language:       OpenCL C
    .language_version:
      - 2
      - 0
    .max_flat_workgroup_size: 256
    .name:           _ZN9rocsparseL17csrilu0_binsearchILj256ELj64ELb1E21rocsparse_complex_numIdEEEviPKiS4_PT2_S4_PiS4_S7_S7_d21rocsparse_index_base_imNS_24const_host_device_scalarIfEENS9_IdEENS9_IS5_EEb
    .private_segment_fixed_size: 16
    .sgpr_count:     32
    .sgpr_spill_count: 0
    .symbol:         _ZN9rocsparseL17csrilu0_binsearchILj256ELj64ELb1E21rocsparse_complex_numIdEEEviPKiS4_PT2_S4_PiS4_S7_S7_d21rocsparse_index_base_imNS_24const_host_device_scalarIfEENS9_IdEENS9_IS5_EEb.kd
    .uniform_work_group_size: 1
    .uses_dynamic_stack: false
    .vgpr_count:     38
    .vgpr_spill_count: 0
    .wavefront_size: 32
    .workgroup_processor_mode: 1
  - .args:
      - .offset:         0
        .size:           4
        .value_kind:     by_value
      - .address_space:  global
        .offset:         8
        .size:           8
        .value_kind:     global_buffer
      - .address_space:  global
        .offset:         16
        .size:           8
        .value_kind:     global_buffer
      - .address_space:  global
        .offset:         24
        .size:           8
        .value_kind:     global_buffer
      - .address_space:  global
        .offset:         32
        .size:           8
        .value_kind:     global_buffer
      - .address_space:  global
        .offset:         40
        .size:           8
        .value_kind:     global_buffer
      - .address_space:  global
        .offset:         48
        .size:           8
        .value_kind:     global_buffer
      - .address_space:  global
        .offset:         56
        .size:           8
        .value_kind:     global_buffer
      - .address_space:  global
        .offset:         64
        .size:           8
        .value_kind:     global_buffer
      - .offset:         72
        .size:           8
        .value_kind:     by_value
      - .offset:         80
        .size:           4
        .value_kind:     by_value
      - .offset:         84
        .size:           4
        .value_kind:     by_value
      - .offset:         88
        .size:           8
        .value_kind:     by_value
      - .offset:         96
        .size:           8
        .value_kind:     by_value
      - .offset:         104
        .size:           8
        .value_kind:     by_value
      - .offset:         112
        .size:           16
        .value_kind:     by_value
      - .offset:         128
        .size:           1
        .value_kind:     by_value
    .group_segment_fixed_size: 2048
    .kernarg_segment_align: 8
    .kernarg_segment_size: 132
    .language:       OpenCL C
    .language_version:
      - 2
      - 0
    .max_flat_workgroup_size: 256
    .name:           _ZN9rocsparseL12csrilu0_hashILj256ELj32ELj1E21rocsparse_complex_numIdEEEviPKiS4_PT2_S4_PiS4_S7_S7_d21rocsparse_index_base_imNS_24const_host_device_scalarIfEENS9_IdEENS9_IS5_EEb
    .private_segment_fixed_size: 16
    .sgpr_count:     42
    .sgpr_spill_count: 0
    .symbol:         _ZN9rocsparseL12csrilu0_hashILj256ELj32ELj1E21rocsparse_complex_numIdEEEviPKiS4_PT2_S4_PiS4_S7_S7_d21rocsparse_index_base_imNS_24const_host_device_scalarIfEENS9_IdEENS9_IS5_EEb.kd
    .uniform_work_group_size: 1
    .uses_dynamic_stack: false
    .vgpr_count:     39
    .vgpr_spill_count: 0
    .wavefront_size: 32
    .workgroup_processor_mode: 1
  - .args:
      - .offset:         0
        .size:           4
        .value_kind:     by_value
      - .address_space:  global
        .offset:         8
        .size:           8
        .value_kind:     global_buffer
      - .address_space:  global
        .offset:         16
        .size:           8
        .value_kind:     global_buffer
      - .address_space:  global
        .offset:         24
        .size:           8
        .value_kind:     global_buffer
      - .address_space:  global
        .offset:         32
        .size:           8
        .value_kind:     global_buffer
      - .address_space:  global
        .offset:         40
        .size:           8
        .value_kind:     global_buffer
      - .address_space:  global
        .offset:         48
        .size:           8
        .value_kind:     global_buffer
      - .address_space:  global
        .offset:         56
        .size:           8
        .value_kind:     global_buffer
      - .address_space:  global
        .offset:         64
        .size:           8
        .value_kind:     global_buffer
      - .offset:         72
        .size:           8
        .value_kind:     by_value
      - .offset:         80
        .size:           4
        .value_kind:     by_value
      - .offset:         84
        .size:           4
        .value_kind:     by_value
      - .offset:         88
        .size:           8
        .value_kind:     by_value
      - .offset:         96
        .size:           8
        .value_kind:     by_value
      - .offset:         104
        .size:           8
        .value_kind:     by_value
      - .offset:         112
        .size:           16
        .value_kind:     by_value
      - .offset:         128
        .size:           1
        .value_kind:     by_value
    .group_segment_fixed_size: 4096
    .kernarg_segment_align: 8
    .kernarg_segment_size: 132
    .language:       OpenCL C
    .language_version:
      - 2
      - 0
    .max_flat_workgroup_size: 256
    .name:           _ZN9rocsparseL12csrilu0_hashILj256ELj32ELj2E21rocsparse_complex_numIdEEEviPKiS4_PT2_S4_PiS4_S7_S7_d21rocsparse_index_base_imNS_24const_host_device_scalarIfEENS9_IdEENS9_IS5_EEb
    .private_segment_fixed_size: 16
    .sgpr_count:     42
    .sgpr_spill_count: 0
    .symbol:         _ZN9rocsparseL12csrilu0_hashILj256ELj32ELj2E21rocsparse_complex_numIdEEEviPKiS4_PT2_S4_PiS4_S7_S7_d21rocsparse_index_base_imNS_24const_host_device_scalarIfEENS9_IdEENS9_IS5_EEb.kd
    .uniform_work_group_size: 1
    .uses_dynamic_stack: false
    .vgpr_count:     39
    .vgpr_spill_count: 0
    .wavefront_size: 32
    .workgroup_processor_mode: 1
  - .args:
      - .offset:         0
        .size:           4
        .value_kind:     by_value
      - .address_space:  global
        .offset:         8
        .size:           8
        .value_kind:     global_buffer
      - .address_space:  global
        .offset:         16
        .size:           8
        .value_kind:     global_buffer
      - .address_space:  global
        .offset:         24
        .size:           8
        .value_kind:     global_buffer
      - .address_space:  global
        .offset:         32
        .size:           8
        .value_kind:     global_buffer
      - .address_space:  global
        .offset:         40
        .size:           8
        .value_kind:     global_buffer
      - .address_space:  global
        .offset:         48
        .size:           8
        .value_kind:     global_buffer
      - .address_space:  global
        .offset:         56
        .size:           8
        .value_kind:     global_buffer
      - .address_space:  global
        .offset:         64
        .size:           8
        .value_kind:     global_buffer
      - .offset:         72
        .size:           8
        .value_kind:     by_value
      - .offset:         80
        .size:           4
        .value_kind:     by_value
      - .offset:         84
        .size:           4
        .value_kind:     by_value
      - .offset:         88
        .size:           8
        .value_kind:     by_value
      - .offset:         96
        .size:           8
        .value_kind:     by_value
      - .offset:         104
        .size:           8
        .value_kind:     by_value
      - .offset:         112
        .size:           16
        .value_kind:     by_value
      - .offset:         128
        .size:           1
        .value_kind:     by_value
    .group_segment_fixed_size: 8192
    .kernarg_segment_align: 8
    .kernarg_segment_size: 132
    .language:       OpenCL C
    .language_version:
      - 2
      - 0
    .max_flat_workgroup_size: 256
    .name:           _ZN9rocsparseL12csrilu0_hashILj256ELj32ELj4E21rocsparse_complex_numIdEEEviPKiS4_PT2_S4_PiS4_S7_S7_d21rocsparse_index_base_imNS_24const_host_device_scalarIfEENS9_IdEENS9_IS5_EEb
    .private_segment_fixed_size: 16
    .sgpr_count:     42
    .sgpr_spill_count: 0
    .symbol:         _ZN9rocsparseL12csrilu0_hashILj256ELj32ELj4E21rocsparse_complex_numIdEEEviPKiS4_PT2_S4_PiS4_S7_S7_d21rocsparse_index_base_imNS_24const_host_device_scalarIfEENS9_IdEENS9_IS5_EEb.kd
    .uniform_work_group_size: 1
    .uses_dynamic_stack: false
    .vgpr_count:     39
    .vgpr_spill_count: 0
    .wavefront_size: 32
    .workgroup_processor_mode: 1
  - .args:
      - .offset:         0
        .size:           4
        .value_kind:     by_value
      - .address_space:  global
        .offset:         8
        .size:           8
        .value_kind:     global_buffer
      - .address_space:  global
        .offset:         16
        .size:           8
        .value_kind:     global_buffer
      - .address_space:  global
        .offset:         24
        .size:           8
        .value_kind:     global_buffer
      - .address_space:  global
        .offset:         32
        .size:           8
        .value_kind:     global_buffer
      - .address_space:  global
        .offset:         40
        .size:           8
        .value_kind:     global_buffer
      - .address_space:  global
        .offset:         48
        .size:           8
        .value_kind:     global_buffer
      - .address_space:  global
        .offset:         56
        .size:           8
        .value_kind:     global_buffer
      - .address_space:  global
        .offset:         64
        .size:           8
        .value_kind:     global_buffer
      - .offset:         72
        .size:           8
        .value_kind:     by_value
      - .offset:         80
        .size:           4
        .value_kind:     by_value
      - .offset:         84
        .size:           4
        .value_kind:     by_value
      - .offset:         88
        .size:           8
        .value_kind:     by_value
      - .offset:         96
        .size:           8
        .value_kind:     by_value
      - .offset:         104
        .size:           8
        .value_kind:     by_value
      - .offset:         112
        .size:           16
        .value_kind:     by_value
      - .offset:         128
        .size:           1
        .value_kind:     by_value
    .group_segment_fixed_size: 16384
    .kernarg_segment_align: 8
    .kernarg_segment_size: 132
    .language:       OpenCL C
    .language_version:
      - 2
      - 0
    .max_flat_workgroup_size: 256
    .name:           _ZN9rocsparseL12csrilu0_hashILj256ELj32ELj8E21rocsparse_complex_numIdEEEviPKiS4_PT2_S4_PiS4_S7_S7_d21rocsparse_index_base_imNS_24const_host_device_scalarIfEENS9_IdEENS9_IS5_EEb
    .private_segment_fixed_size: 16
    .sgpr_count:     42
    .sgpr_spill_count: 0
    .symbol:         _ZN9rocsparseL12csrilu0_hashILj256ELj32ELj8E21rocsparse_complex_numIdEEEviPKiS4_PT2_S4_PiS4_S7_S7_d21rocsparse_index_base_imNS_24const_host_device_scalarIfEENS9_IdEENS9_IS5_EEb.kd
    .uniform_work_group_size: 1
    .uses_dynamic_stack: false
    .vgpr_count:     39
    .vgpr_spill_count: 0
    .wavefront_size: 32
    .workgroup_processor_mode: 1
  - .args:
      - .offset:         0
        .size:           4
        .value_kind:     by_value
      - .address_space:  global
        .offset:         8
        .size:           8
        .value_kind:     global_buffer
      - .address_space:  global
        .offset:         16
        .size:           8
        .value_kind:     global_buffer
      - .address_space:  global
        .offset:         24
        .size:           8
        .value_kind:     global_buffer
      - .address_space:  global
        .offset:         32
        .size:           8
        .value_kind:     global_buffer
      - .address_space:  global
        .offset:         40
        .size:           8
        .value_kind:     global_buffer
      - .address_space:  global
        .offset:         48
        .size:           8
        .value_kind:     global_buffer
      - .address_space:  global
        .offset:         56
        .size:           8
        .value_kind:     global_buffer
      - .address_space:  global
        .offset:         64
        .size:           8
        .value_kind:     global_buffer
      - .offset:         72
        .size:           8
        .value_kind:     by_value
      - .offset:         80
        .size:           4
        .value_kind:     by_value
      - .offset:         84
        .size:           4
        .value_kind:     by_value
      - .offset:         88
        .size:           8
        .value_kind:     by_value
      - .offset:         96
        .size:           8
        .value_kind:     by_value
      - .offset:         104
        .size:           8
        .value_kind:     by_value
      - .offset:         112
        .size:           16
        .value_kind:     by_value
      - .offset:         128
        .size:           1
        .value_kind:     by_value
    .group_segment_fixed_size: 32768
    .kernarg_segment_align: 8
    .kernarg_segment_size: 132
    .language:       OpenCL C
    .language_version:
      - 2
      - 0
    .max_flat_workgroup_size: 256
    .name:           _ZN9rocsparseL12csrilu0_hashILj256ELj32ELj16E21rocsparse_complex_numIdEEEviPKiS4_PT2_S4_PiS4_S7_S7_d21rocsparse_index_base_imNS_24const_host_device_scalarIfEENS9_IdEENS9_IS5_EEb
    .private_segment_fixed_size: 16
    .sgpr_count:     42
    .sgpr_spill_count: 0
    .symbol:         _ZN9rocsparseL12csrilu0_hashILj256ELj32ELj16E21rocsparse_complex_numIdEEEviPKiS4_PT2_S4_PiS4_S7_S7_d21rocsparse_index_base_imNS_24const_host_device_scalarIfEENS9_IdEENS9_IS5_EEb.kd
    .uniform_work_group_size: 1
    .uses_dynamic_stack: false
    .vgpr_count:     39
    .vgpr_spill_count: 0
    .wavefront_size: 32
    .workgroup_processor_mode: 1
  - .args:
      - .offset:         0
        .size:           4
        .value_kind:     by_value
      - .address_space:  global
        .offset:         8
        .size:           8
        .value_kind:     global_buffer
      - .address_space:  global
        .offset:         16
        .size:           8
        .value_kind:     global_buffer
      - .address_space:  global
        .offset:         24
        .size:           8
        .value_kind:     global_buffer
      - .address_space:  global
        .offset:         32
        .size:           8
        .value_kind:     global_buffer
      - .address_space:  global
        .offset:         40
        .size:           8
        .value_kind:     global_buffer
      - .address_space:  global
        .offset:         48
        .size:           8
        .value_kind:     global_buffer
      - .address_space:  global
        .offset:         56
        .size:           8
        .value_kind:     global_buffer
      - .address_space:  global
        .offset:         64
        .size:           8
        .value_kind:     global_buffer
      - .offset:         72
        .size:           8
        .value_kind:     by_value
      - .offset:         80
        .size:           4
        .value_kind:     by_value
      - .offset:         84
        .size:           4
        .value_kind:     by_value
      - .offset:         88
        .size:           8
        .value_kind:     by_value
      - .offset:         96
        .size:           8
        .value_kind:     by_value
      - .offset:         104
        .size:           8
        .value_kind:     by_value
      - .offset:         112
        .size:           16
        .value_kind:     by_value
      - .offset:         128
        .size:           1
        .value_kind:     by_value
    .group_segment_fixed_size: 0
    .kernarg_segment_align: 8
    .kernarg_segment_size: 132
    .language:       OpenCL C
    .language_version:
      - 2
      - 0
    .max_flat_workgroup_size: 256
    .name:           _ZN9rocsparseL17csrilu0_binsearchILj256ELj32ELb0E21rocsparse_complex_numIdEEEviPKiS4_PT2_S4_PiS4_S7_S7_d21rocsparse_index_base_imNS_24const_host_device_scalarIfEENS9_IdEENS9_IS5_EEb
    .private_segment_fixed_size: 16
    .sgpr_count:     32
    .sgpr_spill_count: 0
    .symbol:         _ZN9rocsparseL17csrilu0_binsearchILj256ELj32ELb0E21rocsparse_complex_numIdEEEviPKiS4_PT2_S4_PiS4_S7_S7_d21rocsparse_index_base_imNS_24const_host_device_scalarIfEENS9_IdEENS9_IS5_EEb.kd
    .uniform_work_group_size: 1
    .uses_dynamic_stack: false
    .vgpr_count:     38
    .vgpr_spill_count: 0
    .wavefront_size: 32
    .workgroup_processor_mode: 1
  - .args:
      - .offset:         0
        .size:           4
        .value_kind:     by_value
      - .address_space:  global
        .offset:         8
        .size:           8
        .value_kind:     global_buffer
      - .address_space:  global
        .offset:         16
        .size:           8
        .value_kind:     global_buffer
      - .address_space:  global
        .offset:         24
        .size:           8
        .value_kind:     global_buffer
      - .address_space:  global
        .offset:         32
        .size:           8
        .value_kind:     global_buffer
      - .address_space:  global
        .offset:         40
        .size:           8
        .value_kind:     global_buffer
      - .address_space:  global
        .offset:         48
        .size:           8
        .value_kind:     global_buffer
      - .address_space:  global
        .offset:         56
        .size:           8
        .value_kind:     global_buffer
      - .address_space:  global
        .offset:         64
        .size:           8
        .value_kind:     global_buffer
      - .offset:         72
        .size:           8
        .value_kind:     by_value
      - .offset:         80
        .size:           4
        .value_kind:     by_value
      - .offset:         84
        .size:           4
        .value_kind:     by_value
      - .offset:         88
        .size:           8
        .value_kind:     by_value
      - .offset:         96
        .size:           8
        .value_kind:     by_value
      - .offset:         104
        .size:           8
        .value_kind:     by_value
      - .offset:         112
        .size:           16
        .value_kind:     by_value
      - .offset:         128
        .size:           1
        .value_kind:     by_value
    .group_segment_fixed_size: 2048
    .kernarg_segment_align: 8
    .kernarg_segment_size: 132
    .language:       OpenCL C
    .language_version:
      - 2
      - 0
    .max_flat_workgroup_size: 256
    .name:           _ZN9rocsparseL12csrilu0_hashILj256ELj64ELj1E21rocsparse_complex_numIdEEEviPKiS4_PT2_S4_PiS4_S7_S7_d21rocsparse_index_base_imNS_24const_host_device_scalarIfEENS9_IdEENS9_IS5_EEb
    .private_segment_fixed_size: 16
    .sgpr_count:     42
    .sgpr_spill_count: 0
    .symbol:         _ZN9rocsparseL12csrilu0_hashILj256ELj64ELj1E21rocsparse_complex_numIdEEEviPKiS4_PT2_S4_PiS4_S7_S7_d21rocsparse_index_base_imNS_24const_host_device_scalarIfEENS9_IdEENS9_IS5_EEb.kd
    .uniform_work_group_size: 1
    .uses_dynamic_stack: false
    .vgpr_count:     39
    .vgpr_spill_count: 0
    .wavefront_size: 32
    .workgroup_processor_mode: 1
  - .args:
      - .offset:         0
        .size:           4
        .value_kind:     by_value
      - .address_space:  global
        .offset:         8
        .size:           8
        .value_kind:     global_buffer
      - .address_space:  global
        .offset:         16
        .size:           8
        .value_kind:     global_buffer
      - .address_space:  global
        .offset:         24
        .size:           8
        .value_kind:     global_buffer
      - .address_space:  global
        .offset:         32
        .size:           8
        .value_kind:     global_buffer
      - .address_space:  global
        .offset:         40
        .size:           8
        .value_kind:     global_buffer
      - .address_space:  global
        .offset:         48
        .size:           8
        .value_kind:     global_buffer
      - .address_space:  global
        .offset:         56
        .size:           8
        .value_kind:     global_buffer
      - .address_space:  global
        .offset:         64
        .size:           8
        .value_kind:     global_buffer
      - .offset:         72
        .size:           8
        .value_kind:     by_value
      - .offset:         80
        .size:           4
        .value_kind:     by_value
      - .offset:         84
        .size:           4
        .value_kind:     by_value
      - .offset:         88
        .size:           8
        .value_kind:     by_value
      - .offset:         96
        .size:           8
        .value_kind:     by_value
      - .offset:         104
        .size:           8
        .value_kind:     by_value
      - .offset:         112
        .size:           16
        .value_kind:     by_value
      - .offset:         128
        .size:           1
        .value_kind:     by_value
    .group_segment_fixed_size: 4096
    .kernarg_segment_align: 8
    .kernarg_segment_size: 132
    .language:       OpenCL C
    .language_version:
      - 2
      - 0
    .max_flat_workgroup_size: 256
    .name:           _ZN9rocsparseL12csrilu0_hashILj256ELj64ELj2E21rocsparse_complex_numIdEEEviPKiS4_PT2_S4_PiS4_S7_S7_d21rocsparse_index_base_imNS_24const_host_device_scalarIfEENS9_IdEENS9_IS5_EEb
    .private_segment_fixed_size: 16
    .sgpr_count:     42
    .sgpr_spill_count: 0
    .symbol:         _ZN9rocsparseL12csrilu0_hashILj256ELj64ELj2E21rocsparse_complex_numIdEEEviPKiS4_PT2_S4_PiS4_S7_S7_d21rocsparse_index_base_imNS_24const_host_device_scalarIfEENS9_IdEENS9_IS5_EEb.kd
    .uniform_work_group_size: 1
    .uses_dynamic_stack: false
    .vgpr_count:     39
    .vgpr_spill_count: 0
    .wavefront_size: 32
    .workgroup_processor_mode: 1
  - .args:
      - .offset:         0
        .size:           4
        .value_kind:     by_value
      - .address_space:  global
        .offset:         8
        .size:           8
        .value_kind:     global_buffer
      - .address_space:  global
        .offset:         16
        .size:           8
        .value_kind:     global_buffer
      - .address_space:  global
        .offset:         24
        .size:           8
        .value_kind:     global_buffer
      - .address_space:  global
        .offset:         32
        .size:           8
        .value_kind:     global_buffer
      - .address_space:  global
        .offset:         40
        .size:           8
        .value_kind:     global_buffer
      - .address_space:  global
        .offset:         48
        .size:           8
        .value_kind:     global_buffer
      - .address_space:  global
        .offset:         56
        .size:           8
        .value_kind:     global_buffer
      - .address_space:  global
        .offset:         64
        .size:           8
        .value_kind:     global_buffer
      - .offset:         72
        .size:           8
        .value_kind:     by_value
      - .offset:         80
        .size:           4
        .value_kind:     by_value
      - .offset:         84
        .size:           4
        .value_kind:     by_value
      - .offset:         88
        .size:           8
        .value_kind:     by_value
      - .offset:         96
        .size:           8
        .value_kind:     by_value
      - .offset:         104
        .size:           8
        .value_kind:     by_value
      - .offset:         112
        .size:           16
        .value_kind:     by_value
      - .offset:         128
        .size:           1
        .value_kind:     by_value
    .group_segment_fixed_size: 8192
    .kernarg_segment_align: 8
    .kernarg_segment_size: 132
    .language:       OpenCL C
    .language_version:
      - 2
      - 0
    .max_flat_workgroup_size: 256
    .name:           _ZN9rocsparseL12csrilu0_hashILj256ELj64ELj4E21rocsparse_complex_numIdEEEviPKiS4_PT2_S4_PiS4_S7_S7_d21rocsparse_index_base_imNS_24const_host_device_scalarIfEENS9_IdEENS9_IS5_EEb
    .private_segment_fixed_size: 16
    .sgpr_count:     42
    .sgpr_spill_count: 0
    .symbol:         _ZN9rocsparseL12csrilu0_hashILj256ELj64ELj4E21rocsparse_complex_numIdEEEviPKiS4_PT2_S4_PiS4_S7_S7_d21rocsparse_index_base_imNS_24const_host_device_scalarIfEENS9_IdEENS9_IS5_EEb.kd
    .uniform_work_group_size: 1
    .uses_dynamic_stack: false
    .vgpr_count:     39
    .vgpr_spill_count: 0
    .wavefront_size: 32
    .workgroup_processor_mode: 1
  - .args:
      - .offset:         0
        .size:           4
        .value_kind:     by_value
      - .address_space:  global
        .offset:         8
        .size:           8
        .value_kind:     global_buffer
      - .address_space:  global
        .offset:         16
        .size:           8
        .value_kind:     global_buffer
      - .address_space:  global
        .offset:         24
        .size:           8
        .value_kind:     global_buffer
      - .address_space:  global
        .offset:         32
        .size:           8
        .value_kind:     global_buffer
      - .address_space:  global
        .offset:         40
        .size:           8
        .value_kind:     global_buffer
      - .address_space:  global
        .offset:         48
        .size:           8
        .value_kind:     global_buffer
      - .address_space:  global
        .offset:         56
        .size:           8
        .value_kind:     global_buffer
      - .address_space:  global
        .offset:         64
        .size:           8
        .value_kind:     global_buffer
      - .offset:         72
        .size:           8
        .value_kind:     by_value
      - .offset:         80
        .size:           4
        .value_kind:     by_value
      - .offset:         84
        .size:           4
        .value_kind:     by_value
      - .offset:         88
        .size:           8
        .value_kind:     by_value
      - .offset:         96
        .size:           8
        .value_kind:     by_value
      - .offset:         104
        .size:           8
        .value_kind:     by_value
      - .offset:         112
        .size:           16
        .value_kind:     by_value
      - .offset:         128
        .size:           1
        .value_kind:     by_value
    .group_segment_fixed_size: 16384
    .kernarg_segment_align: 8
    .kernarg_segment_size: 132
    .language:       OpenCL C
    .language_version:
      - 2
      - 0
    .max_flat_workgroup_size: 256
    .name:           _ZN9rocsparseL12csrilu0_hashILj256ELj64ELj8E21rocsparse_complex_numIdEEEviPKiS4_PT2_S4_PiS4_S7_S7_d21rocsparse_index_base_imNS_24const_host_device_scalarIfEENS9_IdEENS9_IS5_EEb
    .private_segment_fixed_size: 16
    .sgpr_count:     42
    .sgpr_spill_count: 0
    .symbol:         _ZN9rocsparseL12csrilu0_hashILj256ELj64ELj8E21rocsparse_complex_numIdEEEviPKiS4_PT2_S4_PiS4_S7_S7_d21rocsparse_index_base_imNS_24const_host_device_scalarIfEENS9_IdEENS9_IS5_EEb.kd
    .uniform_work_group_size: 1
    .uses_dynamic_stack: false
    .vgpr_count:     39
    .vgpr_spill_count: 0
    .wavefront_size: 32
    .workgroup_processor_mode: 1
  - .args:
      - .offset:         0
        .size:           4
        .value_kind:     by_value
      - .address_space:  global
        .offset:         8
        .size:           8
        .value_kind:     global_buffer
      - .address_space:  global
        .offset:         16
        .size:           8
        .value_kind:     global_buffer
      - .address_space:  global
        .offset:         24
        .size:           8
        .value_kind:     global_buffer
      - .address_space:  global
        .offset:         32
        .size:           8
        .value_kind:     global_buffer
      - .address_space:  global
        .offset:         40
        .size:           8
        .value_kind:     global_buffer
      - .address_space:  global
        .offset:         48
        .size:           8
        .value_kind:     global_buffer
      - .address_space:  global
        .offset:         56
        .size:           8
        .value_kind:     global_buffer
      - .address_space:  global
        .offset:         64
        .size:           8
        .value_kind:     global_buffer
      - .offset:         72
        .size:           8
        .value_kind:     by_value
      - .offset:         80
        .size:           4
        .value_kind:     by_value
      - .offset:         84
        .size:           4
        .value_kind:     by_value
      - .offset:         88
        .size:           8
        .value_kind:     by_value
      - .offset:         96
        .size:           8
        .value_kind:     by_value
      - .offset:         104
        .size:           8
        .value_kind:     by_value
      - .offset:         112
        .size:           16
        .value_kind:     by_value
      - .offset:         128
        .size:           1
        .value_kind:     by_value
    .group_segment_fixed_size: 32768
    .kernarg_segment_align: 8
    .kernarg_segment_size: 132
    .language:       OpenCL C
    .language_version:
      - 2
      - 0
    .max_flat_workgroup_size: 256
    .name:           _ZN9rocsparseL12csrilu0_hashILj256ELj64ELj16E21rocsparse_complex_numIdEEEviPKiS4_PT2_S4_PiS4_S7_S7_d21rocsparse_index_base_imNS_24const_host_device_scalarIfEENS9_IdEENS9_IS5_EEb
    .private_segment_fixed_size: 16
    .sgpr_count:     42
    .sgpr_spill_count: 0
    .symbol:         _ZN9rocsparseL12csrilu0_hashILj256ELj64ELj16E21rocsparse_complex_numIdEEEviPKiS4_PT2_S4_PiS4_S7_S7_d21rocsparse_index_base_imNS_24const_host_device_scalarIfEENS9_IdEENS9_IS5_EEb.kd
    .uniform_work_group_size: 1
    .uses_dynamic_stack: false
    .vgpr_count:     39
    .vgpr_spill_count: 0
    .wavefront_size: 32
    .workgroup_processor_mode: 1
  - .args:
      - .offset:         0
        .size:           4
        .value_kind:     by_value
      - .address_space:  global
        .offset:         8
        .size:           8
        .value_kind:     global_buffer
      - .address_space:  global
        .offset:         16
        .size:           8
        .value_kind:     global_buffer
      - .address_space:  global
        .offset:         24
        .size:           8
        .value_kind:     global_buffer
      - .address_space:  global
        .offset:         32
        .size:           8
        .value_kind:     global_buffer
      - .address_space:  global
        .offset:         40
        .size:           8
        .value_kind:     global_buffer
      - .address_space:  global
        .offset:         48
        .size:           8
        .value_kind:     global_buffer
      - .address_space:  global
        .offset:         56
        .size:           8
        .value_kind:     global_buffer
      - .address_space:  global
        .offset:         64
        .size:           8
        .value_kind:     global_buffer
      - .offset:         72
        .size:           8
        .value_kind:     by_value
      - .offset:         80
        .size:           4
        .value_kind:     by_value
      - .offset:         84
        .size:           4
        .value_kind:     by_value
      - .offset:         88
        .size:           8
        .value_kind:     by_value
      - .offset:         96
        .size:           8
        .value_kind:     by_value
      - .offset:         104
        .size:           8
        .value_kind:     by_value
      - .offset:         112
        .size:           16
        .value_kind:     by_value
      - .offset:         128
        .size:           1
        .value_kind:     by_value
    .group_segment_fixed_size: 0
    .kernarg_segment_align: 8
    .kernarg_segment_size: 132
    .language:       OpenCL C
    .language_version:
      - 2
      - 0
    .max_flat_workgroup_size: 256
    .name:           _ZN9rocsparseL17csrilu0_binsearchILj256ELj64ELb0E21rocsparse_complex_numIdEEEviPKiS4_PT2_S4_PiS4_S7_S7_d21rocsparse_index_base_imNS_24const_host_device_scalarIfEENS9_IdEENS9_IS5_EEb
    .private_segment_fixed_size: 16
    .sgpr_count:     32
    .sgpr_spill_count: 0
    .symbol:         _ZN9rocsparseL17csrilu0_binsearchILj256ELj64ELb0E21rocsparse_complex_numIdEEEviPKiS4_PT2_S4_PiS4_S7_S7_d21rocsparse_index_base_imNS_24const_host_device_scalarIfEENS9_IdEENS9_IS5_EEb.kd
    .uniform_work_group_size: 1
    .uses_dynamic_stack: false
    .vgpr_count:     38
    .vgpr_spill_count: 0
    .wavefront_size: 32
    .workgroup_processor_mode: 1
amdhsa.target:   amdgcn-amd-amdhsa--gfx1201
amdhsa.version:
  - 1
  - 2
...

	.end_amdgpu_metadata
